;; amdgpu-corpus repo=ROCm/rocFFT kind=compiled arch=gfx1100 opt=O3
	.text
	.amdgcn_target "amdgcn-amd-amdhsa--gfx1100"
	.amdhsa_code_object_version 6
	.protected	fft_rtc_back_len3240_factors_3_3_10_6_6_wgs_108_tpt_108_halfLds_half_op_CI_CI_unitstride_sbrr_dirReg ; -- Begin function fft_rtc_back_len3240_factors_3_3_10_6_6_wgs_108_tpt_108_halfLds_half_op_CI_CI_unitstride_sbrr_dirReg
	.globl	fft_rtc_back_len3240_factors_3_3_10_6_6_wgs_108_tpt_108_halfLds_half_op_CI_CI_unitstride_sbrr_dirReg
	.p2align	8
	.type	fft_rtc_back_len3240_factors_3_3_10_6_6_wgs_108_tpt_108_halfLds_half_op_CI_CI_unitstride_sbrr_dirReg,@function
fft_rtc_back_len3240_factors_3_3_10_6_6_wgs_108_tpt_108_halfLds_half_op_CI_CI_unitstride_sbrr_dirReg: ; @fft_rtc_back_len3240_factors_3_3_10_6_6_wgs_108_tpt_108_halfLds_half_op_CI_CI_unitstride_sbrr_dirReg
; %bb.0:
	s_clause 0x2
	s_load_b128 s[8:11], s[0:1], 0x0
	s_load_b128 s[4:7], s[0:1], 0x58
	;; [unrolled: 1-line block ×3, first 2 shown]
	v_mul_u32_u24_e32 v1, 0x25f, v0
	v_mov_b32_e32 v7, 0
	v_mov_b32_e32 v5, 0
	;; [unrolled: 1-line block ×3, first 2 shown]
	s_delay_alu instid0(VALU_DEP_4) | instskip(NEXT) | instid1(VALU_DEP_1)
	v_lshrrev_b32_e32 v1, 16, v1
	v_dual_mov_b32 v10, v7 :: v_dual_add_nc_u32 v9, s15, v1
	s_waitcnt lgkmcnt(0)
	v_cmp_lt_u64_e64 s2, s[10:11], 2
	s_delay_alu instid0(VALU_DEP_1)
	s_and_b32 vcc_lo, exec_lo, s2
	s_cbranch_vccnz .LBB0_8
; %bb.1:
	s_load_b64 s[2:3], s[0:1], 0x10
	v_mov_b32_e32 v5, 0
	v_mov_b32_e32 v6, 0
	s_add_u32 s12, s18, 8
	s_addc_u32 s13, s19, 0
	s_add_u32 s14, s16, 8
	s_delay_alu instid0(VALU_DEP_1)
	v_dual_mov_b32 v1, v5 :: v_dual_mov_b32 v2, v6
	s_addc_u32 s15, s17, 0
	s_mov_b64 s[22:23], 1
	s_waitcnt lgkmcnt(0)
	s_add_u32 s20, s2, 8
	s_addc_u32 s21, s3, 0
.LBB0_2:                                ; =>This Inner Loop Header: Depth=1
	s_load_b64 s[24:25], s[20:21], 0x0
                                        ; implicit-def: $vgpr3_vgpr4
	s_mov_b32 s2, exec_lo
	s_waitcnt lgkmcnt(0)
	v_or_b32_e32 v8, s25, v10
	s_delay_alu instid0(VALU_DEP_1)
	v_cmpx_ne_u64_e32 0, v[7:8]
	s_xor_b32 s3, exec_lo, s2
	s_cbranch_execz .LBB0_4
; %bb.3:                                ;   in Loop: Header=BB0_2 Depth=1
	v_cvt_f32_u32_e32 v3, s24
	v_cvt_f32_u32_e32 v4, s25
	s_sub_u32 s2, 0, s24
	s_subb_u32 s26, 0, s25
	s_delay_alu instid0(VALU_DEP_1) | instskip(NEXT) | instid1(VALU_DEP_1)
	v_fmac_f32_e32 v3, 0x4f800000, v4
	v_rcp_f32_e32 v3, v3
	s_waitcnt_depctr 0xfff
	v_mul_f32_e32 v3, 0x5f7ffffc, v3
	s_delay_alu instid0(VALU_DEP_1) | instskip(NEXT) | instid1(VALU_DEP_1)
	v_mul_f32_e32 v4, 0x2f800000, v3
	v_trunc_f32_e32 v4, v4
	s_delay_alu instid0(VALU_DEP_1) | instskip(SKIP_1) | instid1(VALU_DEP_2)
	v_fmac_f32_e32 v3, 0xcf800000, v4
	v_cvt_u32_f32_e32 v4, v4
	v_cvt_u32_f32_e32 v3, v3
	s_delay_alu instid0(VALU_DEP_2) | instskip(NEXT) | instid1(VALU_DEP_2)
	v_mul_lo_u32 v8, s2, v4
	v_mul_hi_u32 v11, s2, v3
	v_mul_lo_u32 v12, s26, v3
	s_delay_alu instid0(VALU_DEP_2) | instskip(SKIP_1) | instid1(VALU_DEP_2)
	v_add_nc_u32_e32 v8, v11, v8
	v_mul_lo_u32 v11, s2, v3
	v_add_nc_u32_e32 v8, v8, v12
	s_delay_alu instid0(VALU_DEP_2) | instskip(NEXT) | instid1(VALU_DEP_2)
	v_mul_hi_u32 v12, v3, v11
	v_mul_lo_u32 v13, v3, v8
	v_mul_hi_u32 v14, v3, v8
	v_mul_hi_u32 v15, v4, v11
	v_mul_lo_u32 v11, v4, v11
	v_mul_hi_u32 v16, v4, v8
	v_mul_lo_u32 v8, v4, v8
	v_add_co_u32 v12, vcc_lo, v12, v13
	v_add_co_ci_u32_e32 v13, vcc_lo, 0, v14, vcc_lo
	s_delay_alu instid0(VALU_DEP_2) | instskip(NEXT) | instid1(VALU_DEP_2)
	v_add_co_u32 v11, vcc_lo, v12, v11
	v_add_co_ci_u32_e32 v11, vcc_lo, v13, v15, vcc_lo
	v_add_co_ci_u32_e32 v12, vcc_lo, 0, v16, vcc_lo
	s_delay_alu instid0(VALU_DEP_2) | instskip(NEXT) | instid1(VALU_DEP_2)
	v_add_co_u32 v8, vcc_lo, v11, v8
	v_add_co_ci_u32_e32 v11, vcc_lo, 0, v12, vcc_lo
	s_delay_alu instid0(VALU_DEP_2) | instskip(NEXT) | instid1(VALU_DEP_2)
	v_add_co_u32 v3, vcc_lo, v3, v8
	v_add_co_ci_u32_e32 v4, vcc_lo, v4, v11, vcc_lo
	s_delay_alu instid0(VALU_DEP_2) | instskip(SKIP_1) | instid1(VALU_DEP_3)
	v_mul_hi_u32 v8, s2, v3
	v_mul_lo_u32 v12, s26, v3
	v_mul_lo_u32 v11, s2, v4
	s_delay_alu instid0(VALU_DEP_1) | instskip(SKIP_1) | instid1(VALU_DEP_2)
	v_add_nc_u32_e32 v8, v8, v11
	v_mul_lo_u32 v11, s2, v3
	v_add_nc_u32_e32 v8, v8, v12
	s_delay_alu instid0(VALU_DEP_2) | instskip(NEXT) | instid1(VALU_DEP_2)
	v_mul_hi_u32 v12, v3, v11
	v_mul_lo_u32 v13, v3, v8
	v_mul_hi_u32 v14, v3, v8
	v_mul_hi_u32 v15, v4, v11
	v_mul_lo_u32 v11, v4, v11
	v_mul_hi_u32 v16, v4, v8
	v_mul_lo_u32 v8, v4, v8
	v_add_co_u32 v12, vcc_lo, v12, v13
	v_add_co_ci_u32_e32 v13, vcc_lo, 0, v14, vcc_lo
	s_delay_alu instid0(VALU_DEP_2) | instskip(NEXT) | instid1(VALU_DEP_2)
	v_add_co_u32 v11, vcc_lo, v12, v11
	v_add_co_ci_u32_e32 v11, vcc_lo, v13, v15, vcc_lo
	v_add_co_ci_u32_e32 v12, vcc_lo, 0, v16, vcc_lo
	s_delay_alu instid0(VALU_DEP_2) | instskip(NEXT) | instid1(VALU_DEP_2)
	v_add_co_u32 v8, vcc_lo, v11, v8
	v_add_co_ci_u32_e32 v11, vcc_lo, 0, v12, vcc_lo
	s_delay_alu instid0(VALU_DEP_2) | instskip(NEXT) | instid1(VALU_DEP_2)
	v_add_co_u32 v8, vcc_lo, v3, v8
	v_add_co_ci_u32_e32 v15, vcc_lo, v4, v11, vcc_lo
	s_delay_alu instid0(VALU_DEP_2) | instskip(SKIP_1) | instid1(VALU_DEP_3)
	v_mul_hi_u32 v16, v9, v8
	v_mad_u64_u32 v[11:12], null, v10, v8, 0
	v_mad_u64_u32 v[3:4], null, v9, v15, 0
	;; [unrolled: 1-line block ×3, first 2 shown]
	s_delay_alu instid0(VALU_DEP_2) | instskip(NEXT) | instid1(VALU_DEP_3)
	v_add_co_u32 v3, vcc_lo, v16, v3
	v_add_co_ci_u32_e32 v4, vcc_lo, 0, v4, vcc_lo
	s_delay_alu instid0(VALU_DEP_2) | instskip(NEXT) | instid1(VALU_DEP_2)
	v_add_co_u32 v3, vcc_lo, v3, v11
	v_add_co_ci_u32_e32 v3, vcc_lo, v4, v12, vcc_lo
	v_add_co_ci_u32_e32 v4, vcc_lo, 0, v14, vcc_lo
	s_delay_alu instid0(VALU_DEP_2) | instskip(NEXT) | instid1(VALU_DEP_2)
	v_add_co_u32 v8, vcc_lo, v3, v13
	v_add_co_ci_u32_e32 v11, vcc_lo, 0, v4, vcc_lo
	s_delay_alu instid0(VALU_DEP_2) | instskip(SKIP_1) | instid1(VALU_DEP_3)
	v_mul_lo_u32 v12, s25, v8
	v_mad_u64_u32 v[3:4], null, s24, v8, 0
	v_mul_lo_u32 v13, s24, v11
	s_delay_alu instid0(VALU_DEP_2) | instskip(NEXT) | instid1(VALU_DEP_2)
	v_sub_co_u32 v3, vcc_lo, v9, v3
	v_add3_u32 v4, v4, v13, v12
	s_delay_alu instid0(VALU_DEP_1) | instskip(NEXT) | instid1(VALU_DEP_1)
	v_sub_nc_u32_e32 v12, v10, v4
	v_subrev_co_ci_u32_e64 v12, s2, s25, v12, vcc_lo
	v_add_co_u32 v13, s2, v8, 2
	s_delay_alu instid0(VALU_DEP_1) | instskip(SKIP_3) | instid1(VALU_DEP_3)
	v_add_co_ci_u32_e64 v14, s2, 0, v11, s2
	v_sub_co_u32 v15, s2, v3, s24
	v_sub_co_ci_u32_e32 v4, vcc_lo, v10, v4, vcc_lo
	v_subrev_co_ci_u32_e64 v12, s2, 0, v12, s2
	v_cmp_le_u32_e32 vcc_lo, s24, v15
	s_delay_alu instid0(VALU_DEP_3) | instskip(SKIP_1) | instid1(VALU_DEP_4)
	v_cmp_eq_u32_e64 s2, s25, v4
	v_cndmask_b32_e64 v15, 0, -1, vcc_lo
	v_cmp_le_u32_e32 vcc_lo, s25, v12
	v_cndmask_b32_e64 v16, 0, -1, vcc_lo
	v_cmp_le_u32_e32 vcc_lo, s24, v3
	;; [unrolled: 2-line block ×3, first 2 shown]
	v_cndmask_b32_e64 v17, 0, -1, vcc_lo
	v_cmp_eq_u32_e32 vcc_lo, s25, v12
	s_delay_alu instid0(VALU_DEP_2) | instskip(SKIP_3) | instid1(VALU_DEP_3)
	v_cndmask_b32_e64 v3, v17, v3, s2
	v_cndmask_b32_e32 v12, v16, v15, vcc_lo
	v_add_co_u32 v15, vcc_lo, v8, 1
	v_add_co_ci_u32_e32 v16, vcc_lo, 0, v11, vcc_lo
	v_cmp_ne_u32_e32 vcc_lo, 0, v12
	s_delay_alu instid0(VALU_DEP_2) | instskip(NEXT) | instid1(VALU_DEP_4)
	v_cndmask_b32_e32 v4, v16, v14, vcc_lo
	v_cndmask_b32_e32 v12, v15, v13, vcc_lo
	v_cmp_ne_u32_e32 vcc_lo, 0, v3
	s_delay_alu instid0(VALU_DEP_3) | instskip(NEXT) | instid1(VALU_DEP_3)
	v_cndmask_b32_e32 v4, v11, v4, vcc_lo
	v_cndmask_b32_e32 v3, v8, v12, vcc_lo
.LBB0_4:                                ;   in Loop: Header=BB0_2 Depth=1
	s_and_not1_saveexec_b32 s2, s3
	s_cbranch_execz .LBB0_6
; %bb.5:                                ;   in Loop: Header=BB0_2 Depth=1
	v_cvt_f32_u32_e32 v3, s24
	s_sub_i32 s3, 0, s24
	s_delay_alu instid0(VALU_DEP_1) | instskip(SKIP_2) | instid1(VALU_DEP_1)
	v_rcp_iflag_f32_e32 v3, v3
	s_waitcnt_depctr 0xfff
	v_mul_f32_e32 v3, 0x4f7ffffe, v3
	v_cvt_u32_f32_e32 v3, v3
	s_delay_alu instid0(VALU_DEP_1) | instskip(NEXT) | instid1(VALU_DEP_1)
	v_mul_lo_u32 v4, s3, v3
	v_mul_hi_u32 v4, v3, v4
	s_delay_alu instid0(VALU_DEP_1) | instskip(NEXT) | instid1(VALU_DEP_1)
	v_add_nc_u32_e32 v3, v3, v4
	v_mul_hi_u32 v3, v9, v3
	s_delay_alu instid0(VALU_DEP_1) | instskip(SKIP_1) | instid1(VALU_DEP_2)
	v_mul_lo_u32 v4, v3, s24
	v_add_nc_u32_e32 v8, 1, v3
	v_sub_nc_u32_e32 v4, v9, v4
	s_delay_alu instid0(VALU_DEP_1) | instskip(SKIP_1) | instid1(VALU_DEP_2)
	v_subrev_nc_u32_e32 v11, s24, v4
	v_cmp_le_u32_e32 vcc_lo, s24, v4
	v_dual_cndmask_b32 v4, v4, v11 :: v_dual_cndmask_b32 v3, v3, v8
	s_delay_alu instid0(VALU_DEP_1) | instskip(NEXT) | instid1(VALU_DEP_2)
	v_cmp_le_u32_e32 vcc_lo, s24, v4
	v_add_nc_u32_e32 v8, 1, v3
	v_mov_b32_e32 v4, v7
	s_delay_alu instid0(VALU_DEP_2)
	v_cndmask_b32_e32 v3, v3, v8, vcc_lo
.LBB0_6:                                ;   in Loop: Header=BB0_2 Depth=1
	s_or_b32 exec_lo, exec_lo, s2
	s_delay_alu instid0(VALU_DEP_2) | instskip(NEXT) | instid1(VALU_DEP_2)
	v_mul_lo_u32 v8, v4, s24
	v_mul_lo_u32 v13, v3, s25
	s_load_b64 s[2:3], s[14:15], 0x0
	v_mad_u64_u32 v[11:12], null, v3, s24, 0
	s_load_b64 s[24:25], s[12:13], 0x0
	s_add_u32 s22, s22, 1
	s_addc_u32 s23, s23, 0
	s_add_u32 s12, s12, 8
	s_addc_u32 s13, s13, 0
	s_add_u32 s14, s14, 8
	s_delay_alu instid0(VALU_DEP_1) | instskip(SKIP_3) | instid1(VALU_DEP_2)
	v_add3_u32 v8, v12, v13, v8
	v_sub_co_u32 v12, vcc_lo, v9, v11
	s_addc_u32 s15, s15, 0
	s_add_u32 s20, s20, 8
	v_sub_co_ci_u32_e32 v10, vcc_lo, v10, v8, vcc_lo
	s_addc_u32 s21, s21, 0
	s_waitcnt lgkmcnt(0)
	s_delay_alu instid0(VALU_DEP_1)
	v_mul_lo_u32 v13, s2, v10
	v_mul_lo_u32 v14, s3, v12
	v_mad_u64_u32 v[8:9], null, s2, v12, v[5:6]
	v_mul_lo_u32 v15, s24, v10
	v_mul_lo_u32 v16, s25, v12
	v_mad_u64_u32 v[10:11], null, s24, v12, v[1:2]
	v_cmp_ge_u64_e64 s2, s[22:23], s[10:11]
	v_add3_u32 v6, v14, v9, v13
	v_mov_b32_e32 v5, v8
	s_delay_alu instid0(VALU_DEP_4)
	v_add3_u32 v2, v16, v11, v15
	v_mov_b32_e32 v1, v10
	s_and_b32 vcc_lo, exec_lo, s2
	s_cbranch_vccnz .LBB0_9
; %bb.7:                                ;   in Loop: Header=BB0_2 Depth=1
	v_dual_mov_b32 v10, v4 :: v_dual_mov_b32 v9, v3
	s_branch .LBB0_2
.LBB0_8:
	v_dual_mov_b32 v1, v5 :: v_dual_mov_b32 v2, v6
	v_dual_mov_b32 v3, v9 :: v_dual_mov_b32 v4, v10
.LBB0_9:
	s_load_b64 s[0:1], s[0:1], 0x28
	v_mul_hi_u32 v68, 0x25ed098, v0
	s_lshl_b64 s[10:11], s[10:11], 3
                                        ; implicit-def: $vgpr25
	s_delay_alu instid0(SALU_CYCLE_1) | instskip(SKIP_4) | instid1(VALU_DEP_1)
	s_add_u32 s2, s18, s10
	s_addc_u32 s3, s19, s11
	s_waitcnt lgkmcnt(0)
	v_cmp_gt_u64_e32 vcc_lo, s[0:1], v[3:4]
	v_cmp_le_u64_e64 s0, s[0:1], v[3:4]
	s_and_saveexec_b32 s1, s0
	s_delay_alu instid0(SALU_CYCLE_1)
	s_xor_b32 s0, exec_lo, s1
; %bb.10:
	v_mul_u32_u24_e32 v5, 0x6c, v68
                                        ; implicit-def: $vgpr68
	s_delay_alu instid0(VALU_DEP_1)
	v_sub_nc_u32_e32 v25, v0, v5
                                        ; implicit-def: $vgpr0
                                        ; implicit-def: $vgpr5_vgpr6
; %bb.11:
	s_or_saveexec_b32 s1, s0
                                        ; implicit-def: $vgpr34
                                        ; implicit-def: $vgpr33
                                        ; implicit-def: $vgpr37
                                        ; implicit-def: $vgpr29
                                        ; implicit-def: $vgpr8
                                        ; implicit-def: $vgpr27
                                        ; implicit-def: $vgpr38
                                        ; implicit-def: $vgpr35
                                        ; implicit-def: $vgpr41
                                        ; implicit-def: $vgpr36
                                        ; implicit-def: $vgpr7
                                        ; implicit-def: $vgpr20
                                        ; implicit-def: $vgpr42
                                        ; implicit-def: $vgpr39
                                        ; implicit-def: $vgpr45
                                        ; implicit-def: $vgpr40
                                        ; implicit-def: $vgpr9
                                        ; implicit-def: $vgpr26
                                        ; implicit-def: $vgpr46
                                        ; implicit-def: $vgpr43
                                        ; implicit-def: $vgpr49
                                        ; implicit-def: $vgpr44
                                        ; implicit-def: $vgpr10
                                        ; implicit-def: $vgpr24
                                        ; implicit-def: $vgpr50
                                        ; implicit-def: $vgpr47
                                        ; implicit-def: $vgpr53
                                        ; implicit-def: $vgpr48
                                        ; implicit-def: $vgpr11
                                        ; implicit-def: $vgpr23
                                        ; implicit-def: $vgpr54
                                        ; implicit-def: $vgpr51
                                        ; implicit-def: $vgpr57
                                        ; implicit-def: $vgpr52
                                        ; implicit-def: $vgpr12
                                        ; implicit-def: $vgpr22
                                        ; implicit-def: $vgpr58
                                        ; implicit-def: $vgpr55
                                        ; implicit-def: $vgpr59
                                        ; implicit-def: $vgpr56
                                        ; implicit-def: $vgpr13
                                        ; implicit-def: $vgpr21
                                        ; implicit-def: $vgpr60
                                        ; implicit-def: $vgpr31
                                        ; implicit-def: $vgpr61
                                        ; implicit-def: $vgpr32
                                        ; implicit-def: $vgpr14
                                        ; implicit-def: $vgpr18
                                        ; implicit-def: $vgpr62
                                        ; implicit-def: $vgpr28
                                        ; implicit-def: $vgpr64
                                        ; implicit-def: $vgpr30
                                        ; implicit-def: $vgpr15
                                        ; implicit-def: $vgpr17
                                        ; implicit-def: $vgpr66
                                        ; implicit-def: $vgpr63
                                        ; implicit-def: $vgpr67
                                        ; implicit-def: $vgpr65
                                        ; implicit-def: $vgpr16
                                        ; implicit-def: $vgpr19
	s_delay_alu instid0(SALU_CYCLE_1)
	s_xor_b32 exec_lo, exec_lo, s1
	s_cbranch_execz .LBB0_13
; %bb.12:
	s_add_u32 s10, s16, s10
	s_addc_u32 s11, s17, s11
	v_lshlrev_b64 v[5:6], 2, v[5:6]
	s_load_b64 s[10:11], s[10:11], 0x0
	s_waitcnt lgkmcnt(0)
	v_mul_lo_u32 v9, s11, v3
	v_mul_lo_u32 v10, s10, v4
	v_mad_u64_u32 v[7:8], null, s10, v3, 0
	s_delay_alu instid0(VALU_DEP_1) | instskip(SKIP_1) | instid1(VALU_DEP_2)
	v_add3_u32 v8, v8, v10, v9
	v_mul_u32_u24_e32 v9, 0x6c, v68
	v_lshlrev_b64 v[7:8], 2, v[7:8]
	s_delay_alu instid0(VALU_DEP_2) | instskip(NEXT) | instid1(VALU_DEP_2)
	v_sub_nc_u32_e32 v25, v0, v9
	v_add_co_u32 v0, s0, s4, v7
	s_delay_alu instid0(VALU_DEP_1) | instskip(NEXT) | instid1(VALU_DEP_3)
	v_add_co_ci_u32_e64 v7, s0, s5, v8, s0
	v_lshlrev_b32_e32 v8, 2, v25
	s_delay_alu instid0(VALU_DEP_3) | instskip(NEXT) | instid1(VALU_DEP_1)
	v_add_co_u32 v0, s0, v0, v5
	v_add_co_ci_u32_e64 v6, s0, v7, v6, s0
	s_delay_alu instid0(VALU_DEP_2) | instskip(NEXT) | instid1(VALU_DEP_1)
	v_add_co_u32 v5, s0, v0, v8
	v_add_co_ci_u32_e64 v6, s0, 0, v6, s0
	s_clause 0x8
	global_load_b32 v19, v[5:6], off
	global_load_b32 v17, v[5:6], off offset:432
	global_load_b32 v18, v[5:6], off offset:864
	;; [unrolled: 1-line block ×8, first 2 shown]
	v_add_co_u32 v7, s0, 0x1000, v5
	s_delay_alu instid0(VALU_DEP_1) | instskip(SKIP_1) | instid1(VALU_DEP_1)
	v_add_co_ci_u32_e64 v8, s0, 0, v6, s0
	v_add_co_u32 v9, s0, 0x2000, v5
	v_add_co_ci_u32_e64 v10, s0, 0, v6, s0
	v_add_co_u32 v11, s0, 0x3000, v5
	s_delay_alu instid0(VALU_DEP_1)
	v_add_co_ci_u32_e64 v12, s0, 0, v6, s0
	s_clause 0x14
	global_load_b32 v65, v[7:8], off offset:224
	global_load_b32 v63, v[9:10], off offset:448
	;; [unrolled: 1-line block ×21, first 2 shown]
	s_waitcnt vmcnt(29)
	v_lshrrev_b32_e32 v16, 16, v19
	s_waitcnt vmcnt(28)
	v_lshrrev_b32_e32 v15, 16, v17
	;; [unrolled: 2-line block ×30, first 2 shown]
.LBB0_13:
	s_or_b32 exec_lo, exec_lo, s1
	v_add_f16_e32 v0, v63, v65
	v_add_f16_e32 v5, v65, v19
	;; [unrolled: 1-line block ×3, first 2 shown]
	v_sub_f16_e32 v65, v65, v63
	v_sub_f16_e32 v6, v67, v66
	v_fmac_f16_e32 v19, -0.5, v0
	v_add_f16_e32 v0, v67, v16
	v_add_f16_e32 v63, v63, v5
	v_fmac_f16_e32 v16, -0.5, v68
	v_mad_u32_u24 v81, v25, 6, 0
	v_fmamk_f16 v67, v6, 0xbaee, v19
	v_add_f16_e32 v5, v66, v0
	v_add_f16_e32 v0, v28, v30
	;; [unrolled: 1-line block ×3, first 2 shown]
	v_fmac_f16_e32 v19, 0x3aee, v6
	v_fmamk_f16 v6, v65, 0x3aee, v16
	v_fmac_f16_e32 v16, 0xbaee, v65
	v_fmac_f16_e32 v17, -0.5, v0
	v_sub_f16_e32 v0, v64, v62
	v_add_f16_e32 v65, v62, v64
	v_add_f16_e32 v64, v64, v15
	;; [unrolled: 1-line block ×3, first 2 shown]
	s_load_b64 s[2:3], s[2:3], 0x0
	v_fmamk_f16 v68, v0, 0xbaee, v17
	v_fmac_f16_e32 v17, 0x3aee, v0
	v_add_f16_e32 v0, v31, v32
	v_fmac_f16_e32 v15, -0.5, v65
	v_sub_f16_e32 v65, v30, v28
	v_add_f16_e32 v28, v62, v64
	v_add_f16_e32 v62, v32, v18
	v_fmac_f16_e32 v18, -0.5, v0
	v_sub_f16_e32 v0, v61, v60
	v_fmamk_f16 v30, v65, 0x3aee, v15
	v_fmac_f16_e32 v15, 0xbaee, v65
	v_add_f16_e32 v64, v60, v61
	v_add_f16_e32 v61, v61, v14
	v_fmamk_f16 v65, v0, 0xbaee, v18
	v_fmac_f16_e32 v18, 0x3aee, v0
	v_add_f16_e32 v0, v55, v56
	v_add_f16_e32 v62, v31, v62
	v_fmac_f16_e32 v14, -0.5, v64
	v_sub_f16_e32 v64, v32, v31
	v_add_f16_e32 v31, v60, v61
	v_add_f16_e32 v60, v56, v21
	v_fmac_f16_e32 v21, -0.5, v0
	v_sub_f16_e32 v0, v59, v58
	v_fmamk_f16 v32, v64, 0x3aee, v14
	v_fmac_f16_e32 v14, 0xbaee, v64
	v_add_f16_e32 v61, v58, v59
	v_add_f16_e32 v59, v59, v13
	v_fmamk_f16 v64, v0, 0xbaee, v21
	v_fmac_f16_e32 v21, 0x3aee, v0
	v_add_f16_e32 v0, v51, v52
	v_add_f16_e32 v60, v55, v60
	v_fmac_f16_e32 v13, -0.5, v61
	v_sub_f16_e32 v61, v56, v55
	v_add_f16_e32 v55, v58, v59
	v_add_f16_e32 v58, v52, v22
	v_add_f16_e32 v59, v54, v57
	v_fmac_f16_e32 v22, -0.5, v0
	v_sub_f16_e32 v0, v57, v54
	v_add_f16_e32 v57, v57, v12
	v_add_f16_e32 v58, v51, v58
	v_fmac_f16_e32 v12, -0.5, v59
	v_sub_f16_e32 v51, v52, v51
	v_fmamk_f16 v52, v0, 0xbaee, v22
	v_fmac_f16_e32 v22, 0x3aee, v0
	v_add_f16_e32 v0, v47, v48
	v_add_f16_e32 v57, v54, v57
	v_fmamk_f16 v59, v51, 0x3aee, v12
	v_add_f16_e32 v54, v48, v23
	v_fmac_f16_e32 v12, 0xbaee, v51
	v_add_f16_e32 v51, v50, v53
	v_fmac_f16_e32 v23, -0.5, v0
	v_sub_f16_e32 v0, v53, v50
	v_add_f16_e32 v54, v47, v54
	v_add_f16_e32 v53, v53, v11
	v_fmac_f16_e32 v11, -0.5, v51
	v_sub_f16_e32 v47, v48, v47
	v_fmamk_f16 v48, v0, 0xbaee, v23
	v_fmac_f16_e32 v23, 0x3aee, v0
	v_add_f16_e32 v0, v43, v44
	v_fmamk_f16 v56, v61, 0x3aee, v13
	v_fmac_f16_e32 v13, 0xbaee, v61
	v_add_f16_e32 v61, v50, v53
	v_fmamk_f16 v74, v47, 0x3aee, v11
	v_add_f16_e32 v50, v44, v24
	v_fmac_f16_e32 v11, 0xbaee, v47
	v_add_f16_e32 v47, v46, v49
	v_fmac_f16_e32 v24, -0.5, v0
	v_sub_f16_e32 v0, v49, v46
	v_add_f16_e32 v50, v43, v50
	v_add_f16_e32 v49, v49, v10
	v_fmac_f16_e32 v10, -0.5, v47
	v_sub_f16_e32 v43, v44, v43
	v_fmamk_f16 v44, v0, 0xbaee, v24
	v_fmac_f16_e32 v24, 0x3aee, v0
	v_add_f16_e32 v0, v39, v40
	v_add_f16_e32 v75, v46, v49
	v_fmamk_f16 v76, v43, 0x3aee, v10
	v_add_f16_e32 v46, v40, v26
	v_fmac_f16_e32 v10, 0xbaee, v43
	v_add_f16_e32 v43, v42, v45
	v_fmac_f16_e32 v26, -0.5, v0
	v_sub_f16_e32 v0, v45, v42
	v_add_f16_e32 v46, v39, v46
	v_add_f16_e32 v45, v45, v9
	v_fmac_f16_e32 v9, -0.5, v43
	v_sub_f16_e32 v39, v40, v39
	v_fmamk_f16 v40, v0, 0xbaee, v26
	v_fmac_f16_e32 v26, 0x3aee, v0
	v_add_f16_e32 v0, v35, v36
	;; [unrolled: 14-line block ×3, first 2 shown]
	v_add_f16_e32 v79, v38, v41
	v_fmamk_f16 v80, v35, 0x3aee, v7
	v_add_f16_e32 v38, v29, v27
	v_fmac_f16_e32 v7, 0xbaee, v35
	v_add_f16_e32 v35, v34, v37
	v_fmac_f16_e32 v27, -0.5, v0
	v_sub_f16_e32 v0, v37, v34
	v_add_f16_e32 v37, v37, v8
	ds_store_b16 v81, v63
	ds_store_b16 v81, v67 offset:2
	ds_store_b16 v81, v19 offset:4
	;; [unrolled: 1-line block ×23, first 2 shown]
	v_add_f16_e32 v38, v33, v38
	v_sub_f16_e32 v29, v29, v33
	v_fmamk_f16 v33, v0, 0xbaee, v27
	v_add_f16_e32 v82, v34, v37
	v_and_b32_e32 v34, 0xff, v25
	v_fmac_f16_e32 v27, 0x3aee, v0
	v_lshl_add_u32 v0, v25, 1, 0
	v_fmac_f16_e32 v8, -0.5, v35
	ds_store_b16 v81, v42 offset:5184
	ds_store_b16 v81, v36 offset:5186
	;; [unrolled: 1-line block ×6, first 2 shown]
	v_mul_lo_u16 v17, 0xab, v34
	s_waitcnt lgkmcnt(0)
	s_barrier
	buffer_gl0_inv
	ds_load_u16 v53, v0 offset:4752
	ds_load_u16 v50, v0 offset:4968
	;; [unrolled: 1-line block ×6, first 2 shown]
	ds_load_u16 v43, v0
	ds_load_u16 v42, v0 offset:216
	ds_load_u16 v41, v0 offset:432
	;; [unrolled: 1-line block ×11, first 2 shown]
	v_lshrrev_b16 v45, 9, v17
	ds_load_u16 v70, v0 offset:2376
	ds_load_u16 v72, v0 offset:2160
	;; [unrolled: 1-line block ×12, first 2 shown]
	s_waitcnt lgkmcnt(0)
	s_barrier
	buffer_gl0_inv
	v_add_nc_u16 v27, v25, 0x6c
	v_mul_lo_u16 v17, v45, 3
	ds_store_b16 v81, v5
	ds_store_b16 v81, v6 offset:2
	ds_store_b16 v81, v16 offset:4
	;; [unrolled: 1-line block ×7, first 2 shown]
	v_add_nc_u32_e32 v30, 0x144, v25
	ds_store_b16 v81, v14 offset:1300
	ds_store_b16 v81, v55 offset:1944
	;; [unrolled: 1-line block ×8, first 2 shown]
	v_and_b32_e32 v33, 0xff, v27
	v_sub_nc_u16 v5, v25, v17
	ds_store_b16 v81, v74 offset:3242
	ds_store_b16 v81, v11 offset:3244
	;; [unrolled: 1-line block ×8, first 2 shown]
	v_and_b32_e32 v32, 0xffff, v30
	v_add_nc_u32_e32 v26, 0x1b0, v25
	v_fmamk_f16 v83, v29, 0x3aee, v8
	v_and_b32_e32 v56, 0xff, v5
	v_mul_lo_u16 v5, 0xab, v33
	v_mul_u32_u24_e32 v10, 0xaaab, v32
	v_and_b32_e32 v28, 0xffff, v26
	v_fmac_f16_e32 v8, 0xbaee, v29
	v_add_nc_u32_e32 v29, 0xd8, v25
	v_lshrrev_b16 v57, 9, v5
	v_lshrrev_b32_e32 v59, 17, v10
	v_mul_u32_u24_e32 v11, 0xaaab, v28
	v_add_nc_u32_e32 v13, 0x21c, v25
	v_and_b32_e32 v31, 0xffff, v29
	v_mul_lo_u16 v5, v57, 3
	v_mul_lo_u16 v12, v59, 3
	v_lshrrev_b32_e32 v61, 17, v11
	v_lshlrev_b32_e32 v9, 3, v56
	v_mul_u32_u24_e32 v6, 0xaaab, v31
	v_sub_nc_u16 v5, v27, v5
	v_sub_nc_u16 v11, v30, v12
	v_and_b32_e32 v12, 0xffff, v13
	v_mul_lo_u16 v14, v61, 3
	v_lshrrev_b32_e32 v55, 17, v6
	v_and_b32_e32 v66, 0xff, v5
	v_and_b32_e32 v68, 0xffff, v11
	v_mul_u32_u24_e32 v11, 0xaaab, v12
	v_sub_nc_u16 v12, v26, v14
	v_add_nc_u32_e32 v15, 0x288, v25
	v_lshlrev_b32_e32 v5, 3, v66
	v_lshlrev_b32_e32 v14, 3, v68
	v_lshrrev_b32_e32 v74, 17, v11
	ds_store_b16 v81, v79 offset:5184
	ds_store_b16 v81, v80 offset:5186
	;; [unrolled: 1-line block ×6, first 2 shown]
	s_waitcnt lgkmcnt(0)
	v_mul_lo_u16 v6, v55, 3
	s_barrier
	buffer_gl0_inv
	s_clause 0x1
	global_load_b64 v[7:8], v9, s[8:9]
	global_load_b64 v[9:10], v5, s[8:9]
	v_and_b32_e32 v75, 0xffff, v12
	global_load_b64 v[11:12], v14, s[8:9]
	v_and_b32_e32 v14, 0xffff, v15
	v_mul_lo_u16 v16, v74, 3
	v_sub_nc_u16 v6, v29, v6
	v_add_nc_u32_e32 v17, 0x2f4, v25
	v_lshlrev_b32_e32 v18, 3, v75
	v_mul_u32_u24_e32 v19, 0xaaab, v14
	v_sub_nc_u16 v16, v13, v16
	v_and_b32_e32 v63, 0xffff, v6
	v_and_b32_e32 v20, 0xffff, v17
	global_load_b64 v[13:14], v18, s[8:9]
	v_lshrrev_b32_e32 v76, 17, v19
	v_and_b32_e32 v78, 0xffff, v16
	v_lshlrev_b32_e32 v6, 3, v63
	v_mul_u32_u24_e32 v16, 0xaaab, v20
	v_add_nc_u32_e32 v23, 0x3cc, v25
	v_mul_lo_u16 v19, v76, 3
	v_lshlrev_b32_e32 v20, 3, v78
	global_load_b64 v[5:6], v6, s[8:9]
	v_lshrrev_b32_e32 v77, 17, v16
	v_cmp_gt_u32_e64 s0, 0x5a, v25
	v_sub_nc_u16 v19, v15, v19
	global_load_b64 v[15:16], v20, s[8:9]
	v_add_nc_u32_e32 v18, 0x360, v25
	v_mul_lo_u16 v20, v77, 3
	v_and_b32_e32 v81, 0xffff, v19
	v_and_b32_e32 v19, 0xffff, v23
	s_delay_alu instid0(VALU_DEP_4) | instskip(NEXT) | instid1(VALU_DEP_4)
	v_and_b32_e32 v21, 0xffff, v18
	v_sub_nc_u16 v17, v17, v20
	s_delay_alu instid0(VALU_DEP_4) | instskip(NEXT) | instid1(VALU_DEP_4)
	v_lshlrev_b32_e32 v20, 3, v81
	v_mul_u32_u24_e32 v19, 0xaaab, v19
	s_delay_alu instid0(VALU_DEP_4) | instskip(NEXT) | instid1(VALU_DEP_4)
	v_mul_u32_u24_e32 v21, 0xaaab, v21
	v_and_b32_e32 v82, 0xffff, v17
	s_delay_alu instid0(VALU_DEP_3) | instskip(NEXT) | instid1(VALU_DEP_3)
	v_lshrrev_b32_e32 v80, 17, v19
	v_lshrrev_b32_e32 v79, 17, v21
	global_load_b64 v[21:22], v20, s[8:9]
	v_mul_lo_u16 v17, v79, 3
	s_delay_alu instid0(VALU_DEP_1) | instskip(NEXT) | instid1(VALU_DEP_1)
	v_sub_nc_u16 v17, v18, v17
	v_and_b32_e32 v83, 0xffff, v17
	v_mul_lo_u16 v17, v80, 3
	s_delay_alu instid0(VALU_DEP_2) | instskip(NEXT) | instid1(VALU_DEP_2)
	v_lshlrev_b32_e32 v18, 3, v83
	v_sub_nc_u16 v23, v23, v17
	s_delay_alu instid0(VALU_DEP_1) | instskip(NEXT) | instid1(VALU_DEP_1)
	v_and_b32_e32 v84, 0xffff, v23
	v_lshlrev_b32_e32 v23, 3, v84
	s_clause 0x1
	global_load_b64 v[23:24], v23, s[8:9]
	global_load_b64 v[17:18], v18, s[8:9]
	v_lshlrev_b32_e32 v20, 3, v82
	global_load_b64 v[19:20], v20, s[8:9]
	ds_load_u16 v87, v0 offset:2160
	ds_load_u16 v88, v0 offset:4320
	;; [unrolled: 1-line block ×16, first 2 shown]
	s_waitcnt vmcnt(9)
	v_lshrrev_b32_e32 v100, 16, v7
	v_lshrrev_b32_e32 v102, 16, v8
	s_waitcnt vmcnt(8)
	v_lshrrev_b32_e32 v105, 16, v9
	v_lshrrev_b32_e32 v106, 16, v10
	s_waitcnt lgkmcnt(15)
	v_mul_f16_e32 v103, v87, v100
	v_mul_f16_e32 v100, v72, v100
	s_waitcnt lgkmcnt(14)
	v_mul_f16_e32 v104, v88, v102
	v_mul_f16_e32 v102, v73, v102
	v_fmac_f16_e32 v103, v72, v7
	v_fma_f16 v7, v87, v7, -v100
	s_delay_alu instid0(VALU_DEP_4) | instskip(NEXT) | instid1(VALU_DEP_4)
	v_fmac_f16_e32 v104, v73, v8
	v_fma_f16 v8, v88, v8, -v102
	s_waitcnt lgkmcnt(10)
	v_mul_f16_e32 v72, v92, v105
	v_mul_f16_e32 v87, v89, v106
	v_mul_f16_e32 v88, v71, v106
	v_mul_f16_e32 v73, v70, v105
	s_delay_alu instid0(VALU_DEP_4) | instskip(NEXT) | instid1(VALU_DEP_4)
	v_fmac_f16_e32 v72, v70, v9
	v_fmac_f16_e32 v87, v71, v10
	s_waitcnt vmcnt(5)
	v_lshrrev_b32_e32 v107, 16, v5
	v_lshrrev_b32_e32 v108, 16, v6
	v_fma_f16 v10, v89, v10, -v88
	v_lshrrev_b32_e32 v71, 16, v11
	ds_load_u16 v88, v0 offset:5184
	s_waitcnt lgkmcnt(10)
	v_mul_f16_e32 v100, v93, v107
	v_mul_f16_e32 v102, v54, v107
	v_mul_f16_e32 v70, v90, v108
	v_fma_f16 v9, v92, v9, -v73
	v_lshrrev_b32_e32 v73, 16, v12
	v_fmac_f16_e32 v100, v54, v5
	v_mul_f16_e32 v54, v53, v108
	v_fmac_f16_e32 v70, v53, v6
	s_waitcnt lgkmcnt(9)
	v_mul_f16_e32 v53, v94, v71
	v_mul_f16_e32 v71, v52, v71
	v_fma_f16 v5, v93, v5, -v102
	v_fma_f16 v6, v90, v6, -v54
	ds_load_u16 v90, v0 offset:5400
	v_lshrrev_b32_e32 v54, 16, v13
	v_fmac_f16_e32 v53, v52, v11
	v_mul_f16_e32 v52, v91, v73
	v_mul_f16_e32 v73, v50, v73
	v_fma_f16 v11, v94, v11, -v71
	s_waitcnt lgkmcnt(9)
	v_mul_f16_e32 v89, v95, v54
	v_fmac_f16_e32 v52, v50, v12
	v_mul_f16_e32 v50, v51, v54
	s_waitcnt vmcnt(4)
	v_lshrrev_b32_e32 v54, 16, v15
	v_fmac_f16_e32 v89, v51, v13
	v_lshrrev_b32_e32 v51, 16, v14
	v_fma_f16 v12, v91, v12, -v73
	v_fma_f16 v13, v95, v13, -v50
	s_waitcnt lgkmcnt(8)
	v_mul_f16_e32 v94, v96, v54
	ds_load_u16 v71, v0 offset:5616
	ds_load_u16 v73, v0 offset:5832
	;; [unrolled: 1-line block ×4, first 2 shown]
	s_waitcnt lgkmcnt(5)
	v_mul_f16_e32 v93, v88, v51
	v_mul_f16_e32 v50, v69, v51
	v_lshrrev_b32_e32 v51, 16, v16
	v_mul_f16_e32 v54, v48, v54
	v_fmac_f16_e32 v94, v48, v15
	v_fmac_f16_e32 v93, v69, v14
	v_fma_f16 v14, v88, v14, -v50
	s_waitcnt lgkmcnt(4)
	v_mul_f16_e32 v50, v90, v51
	s_waitcnt vmcnt(3)
	v_lshrrev_b32_e32 v48, 16, v21
	v_mul_f16_e32 v51, v67, v51
	v_fma_f16 v15, v96, v15, -v54
	v_lshrrev_b32_e32 v54, 16, v22
	v_fmac_f16_e32 v50, v67, v16
	v_mul_f16_e32 v67, v97, v48
	v_fma_f16 v16, v90, v16, -v51
	v_mul_f16_e32 v48, v49, v48
	s_waitcnt lgkmcnt(3)
	v_mul_f16_e32 v69, v71, v54
	v_add_f16_e32 v96, v42, v72
	v_fmac_f16_e32 v67, v49, v21
	v_fma_f16 v21, v97, v21, -v48
	v_mul_f16_e32 v48, v65, v54
	v_fmac_f16_e32 v69, v65, v22
	s_delay_alu instid0(VALU_DEP_2) | instskip(SKIP_3) | instid1(VALU_DEP_2)
	v_fma_f16 v22, v71, v22, -v48
	s_waitcnt vmcnt(0)
	v_lshrrev_b32_e32 v51, 16, v19
	v_lshrrev_b32_e32 v54, 16, v20
	v_mul_f16_e32 v49, v98, v51
	v_mul_f16_e32 v51, v47, v51
	s_waitcnt lgkmcnt(2)
	s_delay_alu instid0(VALU_DEP_3) | instskip(NEXT) | instid1(VALU_DEP_3)
	v_mul_f16_e32 v48, v73, v54
	v_fmac_f16_e32 v49, v47, v19
	v_lshrrev_b32_e32 v47, 16, v17
	v_fma_f16 v19, v98, v19, -v51
	v_mul_f16_e32 v51, v64, v54
	v_lshrrev_b32_e32 v54, 16, v18
	v_fmac_f16_e32 v48, v64, v20
	v_mul_f16_e32 v65, v99, v47
	v_mul_f16_e32 v47, v46, v47
	v_fma_f16 v20, v73, v20, -v51
	s_waitcnt lgkmcnt(1)
	v_mul_f16_e32 v51, v91, v54
	ds_load_u16 v64, v0
	v_fmac_f16_e32 v65, v46, v17
	v_lshrrev_b32_e32 v46, 16, v23
	v_fma_f16 v17, v99, v17, -v47
	v_mul_f16_e32 v47, v62, v54
	v_fmac_f16_e32 v51, v62, v18
	v_lshrrev_b32_e32 v54, 16, v24
	v_mul_f16_e32 v62, v101, v46
	v_mul_f16_e32 v46, v58, v46
	v_fma_f16 v18, v91, v18, -v47
	s_waitcnt lgkmcnt(1)
	v_mul_f16_e32 v47, v92, v54
	v_mul_f16_e32 v54, v60, v54
	v_fmac_f16_e32 v62, v58, v23
	v_fma_f16 v23, v101, v23, -v46
	v_add_f16_e32 v46, v103, v104
	v_fmac_f16_e32 v47, v60, v24
	v_fma_f16 v24, v92, v24, -v54
	v_add_f16_e32 v54, v7, v8
	v_add_f16_e32 v58, v43, v103
	v_fmac_f16_e32 v43, -0.5, v46
	v_sub_f16_e32 v46, v7, v8
	ds_load_u16 v60, v0 offset:216
	ds_load_u16 v71, v0 offset:432
	;; [unrolled: 1-line block ×7, first 2 shown]
	s_waitcnt lgkmcnt(7)
	v_add_f16_e32 v7, v64, v7
	v_fmac_f16_e32 v64, -0.5, v54
	v_add_f16_e32 v54, v58, v104
	v_sub_f16_e32 v58, v103, v104
	v_fmamk_f16 v95, v46, 0xbaee, v43
	v_fmac_f16_e32 v43, 0x3aee, v46
	v_add_f16_e32 v46, v72, v87
	v_add_f16_e32 v7, v7, v8
	v_fmamk_f16 v8, v58, 0x3aee, v64
	v_fmac_f16_e32 v64, 0xbaee, v58
	v_add_f16_e32 v58, v9, v10
	v_fmac_f16_e32 v42, -0.5, v46
	v_sub_f16_e32 v46, v9, v10
	s_waitcnt lgkmcnt(6)
	v_add_f16_e32 v9, v60, v9
	v_sub_f16_e32 v72, v72, v87
	v_fmac_f16_e32 v60, -0.5, v58
	v_add_f16_e32 v58, v96, v87
	v_fmamk_f16 v87, v46, 0xbaee, v42
	v_fmac_f16_e32 v42, 0x3aee, v46
	v_add_f16_e32 v46, v100, v70
	v_add_f16_e32 v9, v9, v10
	v_fmamk_f16 v10, v72, 0x3aee, v60
	v_fmac_f16_e32 v60, 0xbaee, v72
	v_add_f16_e32 v72, v5, v6
	v_add_f16_e32 v96, v41, v100
	v_fmac_f16_e32 v41, -0.5, v46
	v_sub_f16_e32 v46, v5, v6
	s_waitcnt lgkmcnt(5)
	v_add_f16_e32 v5, v71, v5
	v_fmac_f16_e32 v71, -0.5, v72
	v_add_f16_e32 v72, v96, v70
	v_sub_f16_e32 v70, v100, v70
	v_fmamk_f16 v96, v46, 0xbaee, v41
	v_add_f16_e32 v97, v5, v6
	v_add_f16_e32 v5, v53, v52
	v_fmac_f16_e32 v41, 0x3aee, v46
	v_add_f16_e32 v6, v11, v12
	v_add_f16_e32 v46, v40, v53
	v_fmamk_f16 v98, v70, 0x3aee, v71
	v_fmac_f16_e32 v40, -0.5, v5
	v_sub_f16_e32 v5, v11, v12
	s_waitcnt lgkmcnt(4)
	v_add_f16_e32 v11, v73, v11
	v_fmac_f16_e32 v73, -0.5, v6
	v_add_f16_e32 v6, v46, v52
	v_sub_f16_e32 v46, v53, v52
	v_fmamk_f16 v52, v5, 0xbaee, v40
	v_fmac_f16_e32 v40, 0x3aee, v5
	v_add_f16_e32 v5, v89, v93
	v_add_f16_e32 v11, v11, v12
	v_fmamk_f16 v53, v46, 0x3aee, v73
	v_fmac_f16_e32 v73, 0xbaee, v46
	v_add_f16_e32 v12, v13, v14
	v_add_f16_e32 v46, v39, v89
	v_fmac_f16_e32 v39, -0.5, v5
	v_sub_f16_e32 v5, v13, v14
	v_fmac_f16_e32 v71, 0xbaee, v70
	s_waitcnt lgkmcnt(3)
	v_add_f16_e32 v13, v88, v13
	v_fmac_f16_e32 v88, -0.5, v12
	v_add_f16_e32 v12, v46, v93
	v_sub_f16_e32 v46, v89, v93
	v_fmamk_f16 v70, v5, 0xbaee, v39
	v_fmac_f16_e32 v39, 0x3aee, v5
	v_add_f16_e32 v5, v94, v50
	v_add_f16_e32 v13, v13, v14
	v_fmamk_f16 v89, v46, 0x3aee, v88
	v_fmac_f16_e32 v88, 0xbaee, v46
	v_add_f16_e32 v14, v15, v16
	v_add_f16_e32 v46, v38, v94
	v_fmac_f16_e32 v38, -0.5, v5
	v_sub_f16_e32 v5, v15, v16
	s_waitcnt lgkmcnt(2)
	v_add_f16_e32 v15, v90, v15
	v_fmac_f16_e32 v90, -0.5, v14
	v_add_f16_e32 v14, v46, v50
	v_sub_f16_e32 v46, v94, v50
	v_fmamk_f16 v50, v5, 0xbaee, v38
	v_fmac_f16_e32 v38, 0x3aee, v5
	v_add_f16_e32 v5, v67, v69
	v_add_f16_e32 v93, v15, v16
	;; [unrolled: 1-line block ×4, first 2 shown]
	v_fmamk_f16 v94, v46, 0x3aee, v90
	v_fmac_f16_e32 v37, -0.5, v5
	v_sub_f16_e32 v5, v21, v22
	v_fmac_f16_e32 v90, 0xbaee, v46
	s_waitcnt lgkmcnt(1)
	v_add_f16_e32 v21, v91, v21
	v_fmac_f16_e32 v91, -0.5, v15
	v_add_f16_e32 v15, v16, v69
	v_sub_f16_e32 v16, v67, v69
	v_fmamk_f16 v46, v5, 0xbaee, v37
	v_fmac_f16_e32 v37, 0x3aee, v5
	v_add_f16_e32 v5, v49, v48
	v_add_f16_e32 v67, v21, v22
	v_fmamk_f16 v69, v16, 0x3aee, v91
	v_fmac_f16_e32 v91, 0xbaee, v16
	v_add_f16_e32 v16, v19, v20
	v_add_f16_e32 v21, v35, v49
	v_fmac_f16_e32 v35, -0.5, v5
	v_sub_f16_e32 v5, v19, v20
	s_waitcnt lgkmcnt(0)
	v_add_f16_e32 v19, v92, v19
	v_fmac_f16_e32 v92, -0.5, v16
	v_add_f16_e32 v16, v21, v48
	v_sub_f16_e32 v21, v49, v48
	v_fmamk_f16 v22, v5, 0xbaee, v35
	v_fmac_f16_e32 v35, 0x3aee, v5
	v_add_f16_e32 v99, v19, v20
	v_add_f16_e32 v5, v65, v51
	;; [unrolled: 1-line block ×4, first 2 shown]
	v_fmamk_f16 v100, v21, 0x3aee, v92
	v_fmac_f16_e32 v92, 0xbaee, v21
	v_fmac_f16_e32 v36, -0.5, v5
	v_add_f16_e32 v5, v85, v17
	v_sub_f16_e32 v17, v17, v18
	v_fmac_f16_e32 v85, -0.5, v19
	v_add_f16_e32 v19, v20, v51
	v_add_f16_e32 v20, v62, v47
	v_sub_f16_e32 v21, v65, v51
	v_fmamk_f16 v48, v17, 0xbaee, v36
	v_fmac_f16_e32 v36, 0x3aee, v17
	v_add_f16_e32 v17, v44, v62
	v_fmac_f16_e32 v44, -0.5, v20
	v_sub_f16_e32 v20, v23, v24
	v_add_f16_e32 v51, v5, v18
	v_add_f16_e32 v5, v23, v24
	v_fmamk_f16 v65, v21, 0x3aee, v85
	v_fmac_f16_e32 v85, 0xbaee, v21
	v_fmamk_f16 v18, v20, 0xbaee, v44
	v_fmac_f16_e32 v44, 0x3aee, v20
	v_add_f16_e32 v20, v86, v23
	v_fmac_f16_e32 v86, -0.5, v5
	v_and_b32_e32 v5, 0xffff, v45
	v_and_b32_e32 v23, 0xffff, v57
	v_lshlrev_b32_e32 v45, 1, v56
	v_sub_f16_e32 v21, v62, v47
	v_add_f16_e32 v17, v17, v47
	v_mul_u32_u24_e32 v5, 18, v5
	v_lshlrev_b32_e32 v47, 1, v66
	v_mul_u32_u24_e32 v23, 18, v23
	v_add_f16_e32 v56, v20, v24
	v_mul_u32_u24_e32 v20, 18, v55
	v_add3_u32 v62, 0, v5, v45
	v_lshlrev_b32_e32 v5, 1, v63
	v_add3_u32 v66, 0, v23, v47
	s_barrier
	buffer_gl0_inv
	ds_store_b16 v62, v54
	ds_store_b16 v62, v95 offset:6
	ds_store_b16 v62, v43 offset:12
	v_add3_u32 v54, 0, v20, v5
	v_lshlrev_b32_e32 v5, 1, v68
	v_mul_u32_u24_e32 v45, 18, v59
	v_fmamk_f16 v57, v21, 0x3aee, v86
	v_fmac_f16_e32 v86, 0xbaee, v21
	v_lshlrev_b32_e32 v20, 1, v75
	v_lshlrev_b32_e32 v21, 1, v78
	ds_store_b16 v66, v58
	ds_store_b16 v66, v87 offset:6
	ds_store_b16 v66, v42 offset:12
	v_add3_u32 v55, 0, v45, v5
	v_mul_u32_u24_e32 v5, 18, v61
	ds_store_b16 v54, v72
	ds_store_b16 v54, v96 offset:6
	ds_store_b16 v54, v41 offset:12
	v_mul_u32_u24_e32 v41, 18, v74
	v_lshlrev_b32_e32 v24, 1, v82
	ds_store_b16 v55, v6
	ds_store_b16 v55, v52 offset:6
	ds_store_b16 v55, v40 offset:12
	v_add3_u32 v58, 0, v5, v20
	v_mul_u32_u24_e32 v6, 18, v77
	v_add3_u32 v52, 0, v41, v21
	v_lshlrev_b32_e32 v47, 1, v84
	ds_store_b16 v58, v12
	ds_store_b16 v58, v70 offset:6
	ds_store_b16 v58, v39 offset:12
	ds_store_b16 v52, v14
	ds_store_b16 v52, v50 offset:6
	ds_store_b16 v52, v38 offset:12
	v_add3_u32 v50, 0, v6, v24
	v_mul_u32_u24_e32 v6, 18, v80
	v_lshlrev_b32_e32 v23, 1, v81
	v_mul_u32_u24_e32 v5, 18, v76
	v_lshlrev_b32_e32 v43, 1, v83
	s_delay_alu instid0(VALU_DEP_4) | instskip(SKIP_1) | instid1(VALU_DEP_4)
	v_add3_u32 v63, 0, v6, v47
	v_mul_lo_u16 v6, v34, 57
	v_add3_u32 v59, 0, v5, v23
	v_mul_u32_u24_e32 v5, 18, v79
	ds_store_b16 v59, v15
	ds_store_b16 v59, v46 offset:6
	ds_store_b16 v59, v37 offset:12
	v_lshrrev_b16 v6, 9, v6
	v_add3_u32 v61, 0, v5, v43
	ds_store_b16 v50, v16
	ds_store_b16 v50, v22 offset:6
	ds_store_b16 v50, v35 offset:12
	ds_store_b16 v61, v19
	ds_store_b16 v61, v48 offset:6
	ds_store_b16 v61, v36 offset:12
	;; [unrolled: 3-line block ×3, first 2 shown]
	s_waitcnt lgkmcnt(0)
	s_barrier
	buffer_gl0_inv
	ds_load_u16 v14, v0
	ds_load_u16 v12, v0 offset:216
	ds_load_u16 v15, v0 offset:3456
	;; [unrolled: 1-line block ×29, first 2 shown]
	s_waitcnt lgkmcnt(0)
	s_barrier
	buffer_gl0_inv
	ds_store_b16 v62, v7
	ds_store_b16 v62, v8 offset:6
	ds_store_b16 v62, v64 offset:12
	v_mul_lo_u16 v7, v6, 9
	ds_store_b16 v66, v9
	ds_store_b16 v66, v10 offset:6
	ds_store_b16 v66, v60 offset:12
	ds_store_b16 v54, v97
	ds_store_b16 v54, v98 offset:6
	ds_store_b16 v54, v71 offset:12
	;; [unrolled: 3-line block ×8, first 2 shown]
	v_sub_nc_u16 v7, v25, v7
	ds_store_b16 v63, v56
	ds_store_b16 v63, v57 offset:6
	ds_store_b16 v63, v86 offset:12
	s_waitcnt lgkmcnt(0)
	s_barrier
	buffer_gl0_inv
	v_and_b32_e32 v7, 0xff, v7
	v_and_b32_e32 v6, 0xffff, v6
	s_delay_alu instid0(VALU_DEP_2) | instskip(NEXT) | instid1(VALU_DEP_2)
	v_mul_u32_u24_e32 v8, 9, v7
	v_mul_u32_u24_e32 v6, 0xb4, v6
	v_lshlrev_b32_e32 v7, 1, v7
	s_delay_alu instid0(VALU_DEP_3) | instskip(SKIP_1) | instid1(VALU_DEP_3)
	v_lshlrev_b32_e32 v13, 2, v8
	v_mul_lo_u16 v8, v33, 57
	v_add3_u32 v6, 0, v6, v7
	s_clause 0x1
	global_load_b128 v[50:53], v13, s[8:9] offset:24
	global_load_b128 v[59:62], v13, s[8:9] offset:40
	v_lshrrev_b16 v9, 9, v8
	s_delay_alu instid0(VALU_DEP_1) | instskip(SKIP_1) | instid1(VALU_DEP_2)
	v_mul_lo_u16 v8, v9, 9
	v_and_b32_e32 v9, 0xffff, v9
	v_sub_nc_u16 v8, v27, v8
	s_delay_alu instid0(VALU_DEP_2) | instskip(NEXT) | instid1(VALU_DEP_2)
	v_mul_u32_u24_e32 v9, 0xb4, v9
	v_and_b32_e32 v8, 0xff, v8
	s_delay_alu instid0(VALU_DEP_1) | instskip(SKIP_1) | instid1(VALU_DEP_2)
	v_mul_u32_u24_e32 v10, 9, v8
	v_lshlrev_b32_e32 v8, 1, v8
	v_lshlrev_b32_e32 v54, 2, v10
	v_mul_u32_u24_e32 v10, 0xe38f, v31
	s_clause 0x1
	global_load_b128 v[63:66], v54, s[8:9] offset:24
	global_load_b128 v[69:72], v54, s[8:9] offset:40
	v_lshrrev_b32_e32 v10, 19, v10
	s_delay_alu instid0(VALU_DEP_1) | instskip(SKIP_1) | instid1(VALU_DEP_2)
	v_mul_lo_u16 v11, v10, 9
	v_mul_u32_u24_e32 v7, 0xb4, v10
	v_sub_nc_u16 v11, v29, v11
	s_delay_alu instid0(VALU_DEP_1) | instskip(NEXT) | instid1(VALU_DEP_1)
	v_and_b32_e32 v11, 0xffff, v11
	v_mul_u32_u24_e32 v55, 9, v11
	s_delay_alu instid0(VALU_DEP_1)
	v_lshlrev_b32_e32 v55, 2, v55
	s_clause 0x4
	global_load_b128 v[73:76], v55, s[8:9] offset:24
	global_load_b128 v[77:80], v55, s[8:9] offset:40
	global_load_b32 v81, v13, s[8:9] offset:56
	global_load_b32 v54, v54, s[8:9] offset:56
	;; [unrolled: 1-line block ×3, first 2 shown]
	ds_load_u16 v55, v0 offset:648
	ds_load_u16 v56, v0 offset:1296
	ds_load_u16 v67, v0 offset:1944
	ds_load_u16 v83, v0 offset:2592
	ds_load_u16 v84, v0 offset:864
	ds_load_u16 v86, v0 offset:1512
	ds_load_u16 v87, v0 offset:1080
	ds_load_u16 v13, v0 offset:432
	ds_load_u16 v88, v0 offset:3240
	s_waitcnt vmcnt(8)
	v_lshrrev_b32_e32 v57, 16, v50
	v_lshrrev_b32_e32 v85, 16, v51
	;; [unrolled: 1-line block ×3, first 2 shown]
	s_waitcnt lgkmcnt(8)
	s_delay_alu instid0(VALU_DEP_3)
	v_mul_f16_e32 v58, v55, v57
	v_mul_f16_e32 v57, v68, v57
	s_waitcnt lgkmcnt(7)
	v_mul_f16_e32 v90, v56, v85
	s_waitcnt lgkmcnt(6)
	v_mul_f16_e32 v95, v67, v89
	v_fmac_f16_e32 v58, v68, v50
	v_fma_f16 v57, v55, v50, -v57
	v_mul_f16_e32 v50, v46, v85
	v_mul_f16_e32 v55, v48, v89
	ds_load_u16 v85, v0 offset:2160
	ds_load_u16 v91, v0 offset:2808
	;; [unrolled: 1-line block ×5, first 2 shown]
	v_fmac_f16_e32 v90, v46, v51
	ds_load_u16 v46, v0 offset:4536
	v_fma_f16 v51, v56, v51, -v50
	v_fmac_f16_e32 v95, v48, v52
	v_fma_f16 v52, v67, v52, -v55
	ds_load_u16 v67, v0 offset:5184
	ds_load_u16 v50, v0 offset:3888
	v_lshrrev_b32_e32 v68, 16, v53
	s_waitcnt vmcnt(7)
	v_lshrrev_b32_e32 v48, 16, v59
	v_lshrrev_b32_e32 v55, 16, v61
	s_waitcnt lgkmcnt(13)
	v_mul_f16_e32 v89, v83, v68
	v_mul_f16_e32 v56, v47, v68
	s_waitcnt lgkmcnt(8)
	v_mul_f16_e32 v96, v88, v48
	v_mul_f16_e32 v48, v45, v48
	v_fmac_f16_e32 v89, v47, v53
	v_lshrrev_b32_e32 v47, 16, v60
	v_fma_f16 v53, v83, v53, -v56
	v_lshrrev_b32_e32 v56, 16, v62
	s_waitcnt lgkmcnt(2)
	v_mul_f16_e32 v102, v46, v55
	v_fmac_f16_e32 v96, v45, v59
	ds_load_u16 v45, v0 offset:4104
	ds_load_u16 v83, v0 offset:3456
	;; [unrolled: 1-line block ×6, first 2 shown]
	v_fma_f16 v59, v88, v59, -v48
	s_waitcnt lgkmcnt(7)
	v_mul_f16_e32 v106, v67, v56
	s_waitcnt lgkmcnt(6)
	v_mul_f16_e32 v101, v50, v47
	v_mul_f16_e32 v47, v44, v47
	v_fmac_f16_e32 v102, v43, v61
	v_mul_f16_e32 v48, v40, v56
	v_fmac_f16_e32 v106, v40, v62
	v_fmac_f16_e32 v101, v44, v60
	v_fma_f16 v60, v50, v60, -v47
	v_mul_f16_e32 v44, v43, v55
	s_waitcnt vmcnt(6)
	v_lshrrev_b32_e32 v47, 16, v63
	v_fma_f16 v40, v67, v62, -v48
	ds_load_u16 v43, v0 offset:5400
	ds_load_u16 v88, v0 offset:5616
	;; [unrolled: 1-line block ×5, first 2 shown]
	v_fma_f16 v61, v46, v61, -v44
	v_lshrrev_b32_e32 v44, 16, v64
	v_mul_f16_e32 v55, v84, v47
	v_mul_f16_e32 v46, v41, v47
	v_lshrrev_b32_e32 v47, 16, v65
	v_sub_f16_e32 v62, v51, v40
	v_mul_f16_e32 v107, v86, v44
	v_fmac_f16_e32 v55, v41, v63
	v_lshrrev_b32_e32 v41, 16, v66
	v_mul_f16_e32 v67, v85, v47
	v_mul_f16_e32 v44, v36, v44
	v_fmac_f16_e32 v107, v36, v64
	v_mul_f16_e32 v36, v42, v47
	v_fma_f16 v56, v84, v63, -v46
	v_fmac_f16_e32 v67, v42, v65
	s_waitcnt vmcnt(5)
	v_lshrrev_b32_e32 v42, 16, v69
	v_fma_f16 v84, v86, v64, -v44
	v_mul_f16_e32 v86, v91, v41
	v_mul_f16_e32 v41, v37, v41
	v_fma_f16 v65, v85, v65, -v36
	v_lshrrev_b32_e32 v36, 16, v70
	s_waitcnt lgkmcnt(9)
	v_mul_f16_e32 v68, v83, v42
	v_fmac_f16_e32 v86, v37, v66
	v_fma_f16 v85, v91, v66, -v41
	v_mul_f16_e32 v37, v15, v42
	v_lshrrev_b32_e32 v41, 16, v71
	v_mul_f16_e32 v91, v45, v36
	v_fmac_f16_e32 v68, v15, v69
	v_mul_f16_e32 v15, v38, v36
	v_lshrrev_b32_e32 v36, 16, v72
	v_fma_f16 v64, v83, v69, -v37
	s_waitcnt lgkmcnt(8)
	v_mul_f16_e32 v69, v97, v41
	s_waitcnt vmcnt(4)
	v_lshrrev_b32_e32 v37, 16, v74
	v_fma_f16 v83, v45, v70, -v15
	s_waitcnt lgkmcnt(4)
	v_mul_f16_e32 v108, v43, v36
	v_mul_f16_e32 v36, v16, v36
	;; [unrolled: 1-line block ×3, first 2 shown]
	v_fmac_f16_e32 v69, v35, v71
	v_lshrrev_b32_e32 v35, 16, v73
	v_fmac_f16_e32 v108, v16, v72
	v_fma_f16 v72, v43, v72, -v36
	v_mul_f16_e32 v47, v94, v37
	v_mul_f16_e32 v36, v21, v37
	v_lshrrev_b32_e32 v37, 16, v76
	v_fma_f16 v66, v97, v71, -v15
	v_mul_f16_e32 v15, v87, v35
	v_mul_f16_e32 v16, v19, v35
	v_lshrrev_b32_e32 v35, 16, v75
	v_mul_f16_e32 v45, v92, v37
	v_fmac_f16_e32 v47, v21, v74
	v_fmac_f16_e32 v15, v19, v73
	v_fma_f16 v43, v94, v74, -v36
	v_mul_f16_e32 v19, v93, v35
	v_mul_f16_e32 v21, v18, v35
	s_waitcnt vmcnt(3)
	v_lshrrev_b32_e32 v35, 16, v77
	v_mul_f16_e32 v36, v17, v37
	v_fmac_f16_e32 v45, v17, v76
	v_lshrrev_b32_e32 v17, 16, v78
	v_fmac_f16_e32 v19, v18, v75
	v_fma_f16 v18, v93, v75, -v21
	v_mul_f16_e32 v21, v100, v35
	v_fma_f16 v44, v92, v76, -v36
	v_lshrrev_b32_e32 v36, 16, v79
	v_mul_f16_e32 v48, v99, v17
	v_fmac_f16_e32 v91, v38, v70
	v_mul_f16_e32 v35, v22, v35
	v_fmac_f16_e32 v21, v22, v77
	v_lshrrev_b32_e32 v37, 16, v80
	v_mul_f16_e32 v38, v24, v17
	v_mul_f16_e32 v22, v98, v36
	v_fmac_f16_e32 v48, v24, v78
	v_mul_f16_e32 v24, v20, v36
	s_waitcnt lgkmcnt(3)
	v_mul_f16_e32 v50, v88, v37
	s_waitcnt vmcnt(1)
	v_lshrrev_b32_e32 v36, 16, v54
	v_fmac_f16_e32 v22, v20, v79
	ds_load_u16 v42, v0
	ds_load_u16 v63, v0 offset:216
	v_fma_f16 v20, v98, v79, -v24
	v_mul_f16_e32 v24, v49, v37
	v_fma_f16 v17, v100, v77, -v35
	v_lshrrev_b32_e32 v35, 16, v81
	v_fmac_f16_e32 v50, v49, v80
	s_waitcnt lgkmcnt(3)
	v_mul_f16_e32 v71, v104, v36
	v_fma_f16 v49, v88, v80, -v24
	s_waitcnt vmcnt(0)
	v_lshrrev_b32_e32 v24, 16, v82
	v_mul_f16_e32 v36, v34, v36
	v_fma_f16 v46, v99, v78, -v38
	s_waitcnt lgkmcnt(2)
	v_mul_f16_e32 v41, v105, v35
	v_add_f16_e32 v37, v89, v101
	v_fmac_f16_e32 v71, v34, v54
	v_mul_f16_e32 v38, v103, v24
	v_add_f16_e32 v34, v14, v90
	v_fma_f16 v70, v104, v54, -v36
	v_add_f16_e32 v36, v90, v106
	v_mul_f16_e32 v35, v39, v35
	v_fmac_f16_e32 v41, v39, v81
	v_fma_f16 v39, -0.5, v37, v14
	v_fmac_f16_e32 v38, v23, v82
	v_add_f16_e32 v34, v34, v89
	v_mul_f16_e32 v23, v23, v24
	v_sub_f16_e32 v24, v90, v89
	v_fmac_f16_e32 v14, -0.5, v36
	v_sub_f16_e32 v36, v106, v101
	v_fma_f16 v16, v87, v73, -v16
	v_fmamk_f16 v73, v62, 0xbb9c, v39
	v_sub_f16_e32 v54, v53, v60
	v_add_f16_e32 v34, v34, v101
	v_fma_f16 v37, v103, v82, -v23
	v_fmac_f16_e32 v39, 0x3b9c, v62
	v_sub_f16_e32 v23, v89, v90
	v_sub_f16_e32 v74, v101, v106
	v_add_f16_e32 v24, v24, v36
	s_waitcnt lgkmcnt(1)
	v_add_f16_e32 v36, v42, v51
	v_fmac_f16_e32 v73, 0xb8b4, v54
	v_fmamk_f16 v75, v54, 0x3b9c, v14
	v_fmac_f16_e32 v39, 0x38b4, v54
	v_add_f16_e32 v23, v23, v74
	v_fmac_f16_e32 v14, 0xbb9c, v54
	v_add_f16_e32 v54, v53, v60
	v_add_f16_e32 v74, v34, v106
	;; [unrolled: 1-line block ×3, first 2 shown]
	v_fmac_f16_e32 v73, 0x34f2, v24
	v_sub_f16_e32 v36, v90, v106
	v_fma_f16 v76, -0.5, v54, v42
	v_fmac_f16_e32 v39, 0x34f2, v24
	v_add_f16_e32 v24, v34, v60
	v_add_f16_e32 v34, v51, v40
	v_fmac_f16_e32 v75, 0xb8b4, v62
	v_fmac_f16_e32 v14, 0x38b4, v62
	v_fmamk_f16 v77, v36, 0x3b9c, v76
	v_sub_f16_e32 v54, v89, v101
	v_sub_f16_e32 v62, v51, v53
	;; [unrolled: 1-line block ×3, first 2 shown]
	v_fmac_f16_e32 v42, -0.5, v34
	v_add_f16_e32 v79, v24, v40
	v_fmac_f16_e32 v76, 0xbb9c, v36
	v_sub_f16_e32 v24, v53, v51
	v_sub_f16_e32 v34, v60, v40
	v_add_f16_e32 v40, v58, v95
	v_fma_f16 v35, v105, v81, -v35
	v_fmac_f16_e32 v75, 0x34f2, v23
	v_fmac_f16_e32 v14, 0x34f2, v23
	;; [unrolled: 1-line block ×3, first 2 shown]
	v_add_f16_e32 v23, v62, v78
	v_fmamk_f16 v78, v54, 0xbb9c, v42
	v_fmac_f16_e32 v76, 0xb8b4, v54
	v_add_f16_e32 v24, v24, v34
	v_fmac_f16_e32 v42, 0x3b9c, v54
	v_add_f16_e32 v34, v40, v96
	v_add_f16_e32 v40, v96, v102
	v_fmac_f16_e32 v77, 0x34f2, v23
	v_fmac_f16_e32 v78, 0x38b4, v36
	;; [unrolled: 1-line block ×4, first 2 shown]
	v_add_f16_e32 v23, v34, v102
	v_add_f16_e32 v34, v95, v41
	v_fma_f16 v36, -0.5, v40, v58
	v_sub_f16_e32 v40, v52, v35
	v_fmac_f16_e32 v78, 0x34f2, v24
	v_fmac_f16_e32 v42, 0x34f2, v24
	v_sub_f16_e32 v24, v59, v61
	v_fmac_f16_e32 v58, -0.5, v34
	v_sub_f16_e32 v34, v95, v96
	v_sub_f16_e32 v51, v41, v102
	v_fmamk_f16 v60, v40, 0xbb9c, v36
	v_fmac_f16_e32 v36, 0x3b9c, v40
	v_fmamk_f16 v62, v24, 0x3b9c, v58
	v_sub_f16_e32 v53, v96, v95
	v_add_f16_e32 v34, v34, v51
	v_fmac_f16_e32 v60, 0xb8b4, v24
	v_fmac_f16_e32 v36, 0x38b4, v24
	v_sub_f16_e32 v51, v102, v41
	v_fmac_f16_e32 v58, 0xbb9c, v24
	v_add_f16_e32 v24, v59, v61
	v_fmac_f16_e32 v60, 0x34f2, v34
	v_fmac_f16_e32 v36, 0x34f2, v34
	v_add_f16_e32 v34, v52, v35
	v_add_f16_e32 v80, v23, v41
	v_fmac_f16_e32 v62, 0xb8b4, v40
	v_add_f16_e32 v23, v53, v51
	v_fmac_f16_e32 v58, 0x38b4, v40
	v_fma_f16 v24, -0.5, v24, v57
	v_sub_f16_e32 v40, v95, v41
	v_add_f16_e32 v41, v57, v52
	v_sub_f16_e32 v51, v96, v102
	v_fmac_f16_e32 v57, -0.5, v34
	v_fmac_f16_e32 v62, 0x34f2, v23
	v_fmac_f16_e32 v58, 0x34f2, v23
	v_fmamk_f16 v23, v40, 0x3b9c, v24
	v_sub_f16_e32 v34, v52, v59
	v_sub_f16_e32 v53, v35, v61
	v_fmamk_f16 v81, v51, 0xbb9c, v57
	v_sub_f16_e32 v52, v59, v52
	v_sub_f16_e32 v54, v61, v35
	v_fmac_f16_e32 v57, 0x3b9c, v51
	v_fmac_f16_e32 v23, 0x38b4, v51
	v_add_f16_e32 v34, v34, v53
	v_fmac_f16_e32 v81, 0x38b4, v40
	v_add_f16_e32 v52, v52, v54
	v_fmac_f16_e32 v57, 0xb8b4, v40
	v_fmac_f16_e32 v24, 0xbb9c, v40
	v_add_f16_e32 v40, v41, v59
	v_fmac_f16_e32 v23, 0x34f2, v34
	v_fmac_f16_e32 v81, 0x34f2, v52
	;; [unrolled: 1-line block ×4, first 2 shown]
	v_add_f16_e32 v40, v40, v61
	v_mul_f16_e32 v41, 0xb8b4, v23
	v_mul_f16_e32 v61, 0xbb9c, v81
	;; [unrolled: 1-line block ×4, first 2 shown]
	v_fmac_f16_e32 v24, 0x34f2, v34
	v_add_f16_e32 v40, v40, v35
	v_fmac_f16_e32 v41, 0x3a79, v60
	v_fmac_f16_e32 v61, 0x34f2, v62
	;; [unrolled: 1-line block ×3, first 2 shown]
	v_mul_f16_e32 v88, 0x3a79, v23
	v_mul_f16_e32 v89, 0xb4f2, v57
	v_fmac_f16_e32 v81, 0x3b9c, v62
	v_mul_f16_e32 v87, 0xb8b4, v24
	v_add_f16_e32 v51, v74, v80
	v_add_f16_e32 v52, v73, v41
	v_add_f16_e32 v53, v75, v61
	v_add_f16_e32 v54, v14, v82
	v_fmac_f16_e32 v88, 0x38b4, v60
	v_fmac_f16_e32 v89, 0x3b9c, v58
	v_add_f16_e32 v23, v79, v40
	v_add_f16_e32 v34, v78, v81
	v_sub_f16_e32 v58, v74, v80
	v_sub_f16_e32 v59, v73, v41
	v_add_f16_e32 v41, v86, v91
	v_sub_f16_e32 v60, v75, v61
	v_sub_f16_e32 v61, v14, v82
	;; [unrolled: 1-line block ×6, first 2 shown]
	v_add_f16_e32 v80, v107, v108
	v_fmac_f16_e32 v87, 0xba79, v36
	v_mul_f16_e32 v90, 0xba79, v24
	v_add_f16_e32 v73, v12, v107
	v_fma_f16 v74, -0.5, v41, v12
	v_sub_f16_e32 v75, v84, v72
	v_add_f16_e32 v78, v78, v79
	v_fmac_f16_e32 v12, -0.5, v80
	v_sub_f16_e32 v79, v86, v107
	v_sub_f16_e32 v80, v91, v108
	v_add_f16_e32 v57, v39, v87
	v_fmac_f16_e32 v90, 0x38b4, v36
	v_add_f16_e32 v24, v77, v88
	v_sub_f16_e32 v62, v39, v87
	v_sub_f16_e32 v39, v77, v88
	v_fmamk_f16 v77, v75, 0xbb9c, v74
	v_sub_f16_e32 v81, v85, v83
	v_fmac_f16_e32 v74, 0x3b9c, v75
	v_add_f16_e32 v79, v79, v80
	s_waitcnt lgkmcnt(0)
	v_add_f16_e32 v80, v63, v84
	v_add_f16_e32 v35, v42, v89
	;; [unrolled: 1-line block ×3, first 2 shown]
	v_sub_f16_e32 v41, v42, v89
	v_fmac_f16_e32 v77, 0xb8b4, v81
	v_sub_f16_e32 v42, v76, v90
	v_fmamk_f16 v76, v81, 0x3b9c, v12
	v_fmac_f16_e32 v74, 0x38b4, v81
	v_fmac_f16_e32 v12, 0xbb9c, v81
	v_add_f16_e32 v81, v85, v83
	v_add_f16_e32 v80, v80, v85
	v_fmac_f16_e32 v76, 0xb8b4, v75
	v_sub_f16_e32 v82, v107, v108
	v_fmac_f16_e32 v12, 0x38b4, v75
	v_fma_f16 v81, -0.5, v81, v63
	v_add_f16_e32 v75, v80, v83
	v_add_f16_e32 v80, v84, v72
	;; [unrolled: 1-line block ×3, first 2 shown]
	v_fmac_f16_e32 v77, 0x34f2, v78
	v_fmac_f16_e32 v74, 0x34f2, v78
	v_fmamk_f16 v78, v82, 0x3b9c, v81
	v_sub_f16_e32 v86, v86, v91
	v_sub_f16_e32 v87, v84, v85
	v_sub_f16_e32 v88, v72, v83
	v_fmac_f16_e32 v63, -0.5, v80
	v_add_f16_e32 v75, v75, v72
	v_fmac_f16_e32 v81, 0xbb9c, v82
	v_sub_f16_e32 v84, v85, v84
	v_sub_f16_e32 v72, v83, v72
	v_add_f16_e32 v83, v55, v67
	v_fmac_f16_e32 v76, 0x34f2, v79
	v_fmac_f16_e32 v12, 0x34f2, v79
	;; [unrolled: 1-line block ×3, first 2 shown]
	v_add_f16_e32 v79, v87, v88
	v_fmamk_f16 v80, v86, 0xbb9c, v63
	v_fmac_f16_e32 v81, 0xb8b4, v86
	v_add_f16_e32 v72, v84, v72
	v_fmac_f16_e32 v63, 0x3b9c, v86
	v_add_f16_e32 v83, v83, v68
	v_add_f16_e32 v84, v68, v69
	v_fmac_f16_e32 v78, 0x34f2, v79
	v_fmac_f16_e32 v80, 0x38b4, v82
	;; [unrolled: 1-line block ×4, first 2 shown]
	v_add_f16_e32 v79, v83, v69
	v_add_f16_e32 v82, v67, v71
	v_fma_f16 v83, -0.5, v84, v55
	v_sub_f16_e32 v84, v65, v70
	v_fmac_f16_e32 v80, 0x34f2, v72
	v_fmac_f16_e32 v63, 0x34f2, v72
	v_sub_f16_e32 v72, v64, v66
	v_fmac_f16_e32 v55, -0.5, v82
	v_sub_f16_e32 v82, v67, v68
	v_sub_f16_e32 v85, v71, v69
	v_fmamk_f16 v86, v84, 0xbb9c, v83
	v_fmac_f16_e32 v83, 0x3b9c, v84
	v_fmamk_f16 v87, v72, 0x3b9c, v55
	v_fmac_f16_e32 v55, 0xbb9c, v72
	v_add_f16_e32 v82, v82, v85
	v_fmac_f16_e32 v86, 0xb8b4, v72
	v_fmac_f16_e32 v83, 0x38b4, v72
	v_add_f16_e32 v72, v64, v66
	v_sub_f16_e32 v88, v68, v67
	v_sub_f16_e32 v85, v69, v71
	v_fmac_f16_e32 v86, 0x34f2, v82
	v_fmac_f16_e32 v83, 0x34f2, v82
	v_add_f16_e32 v82, v65, v70
	v_fma_f16 v72, -0.5, v72, v56
	v_sub_f16_e32 v67, v67, v71
	v_add_f16_e32 v79, v79, v71
	v_fmac_f16_e32 v87, 0xb8b4, v84
	v_add_f16_e32 v85, v88, v85
	v_fmac_f16_e32 v55, 0x38b4, v84
	v_add_f16_e32 v71, v56, v65
	v_sub_f16_e32 v68, v68, v69
	v_fmac_f16_e32 v56, -0.5, v82
	v_fmamk_f16 v69, v67, 0x3b9c, v72
	v_sub_f16_e32 v82, v65, v64
	v_sub_f16_e32 v84, v70, v66
	v_fmac_f16_e32 v87, 0x34f2, v85
	v_fmac_f16_e32 v55, 0x34f2, v85
	v_fmamk_f16 v85, v68, 0xbb9c, v56
	v_sub_f16_e32 v65, v64, v65
	v_sub_f16_e32 v88, v66, v70
	v_fmac_f16_e32 v56, 0x3b9c, v68
	v_fmac_f16_e32 v69, 0x38b4, v68
	v_add_f16_e32 v82, v82, v84
	v_fmac_f16_e32 v72, 0xbb9c, v67
	v_add_f16_e32 v65, v65, v88
	;; [unrolled: 2-line block ×3, first 2 shown]
	v_fmac_f16_e32 v69, 0x34f2, v82
	v_fmac_f16_e32 v72, 0xb8b4, v68
	;; [unrolled: 1-line block ×3, first 2 shown]
	v_add_f16_e32 v64, v71, v64
	v_fmac_f16_e32 v56, 0x34f2, v65
	v_mul_f16_e32 v67, 0xb8b4, v69
	v_fmac_f16_e32 v72, 0x34f2, v82
	v_add_f16_e32 v73, v73, v108
	v_add_f16_e32 v64, v64, v66
	v_mul_f16_e32 v71, 0xbb9c, v56
	v_fmac_f16_e32 v67, 0x3a79, v86
	v_mul_f16_e32 v82, 0xb8b4, v72
	v_mul_f16_e32 v69, 0x3a79, v69
	v_fmac_f16_e32 v85, 0x34f2, v65
	v_add_f16_e32 v70, v64, v70
	v_fmac_f16_e32 v71, 0xb4f2, v55
	v_add_f16_e32 v84, v73, v79
	v_add_f16_e32 v88, v77, v67
	v_fmac_f16_e32 v82, 0xba79, v83
	v_mul_f16_e32 v91, 0xb4f2, v56
	v_fmac_f16_e32 v69, 0x38b4, v86
	v_sub_f16_e32 v73, v73, v79
	v_sub_f16_e32 v77, v77, v67
	v_add_f16_e32 v67, v45, v48
	v_add_f16_e32 v79, v5, v47
	v_mul_f16_e32 v68, 0xbb9c, v85
	v_add_f16_e32 v90, v12, v71
	v_mul_f16_e32 v85, 0x34f2, v85
	v_mul_f16_e32 v72, 0xba79, v72
	v_add_f16_e32 v92, v74, v82
	v_fmac_f16_e32 v91, 0x3b9c, v55
	v_add_f16_e32 v55, v75, v70
	v_add_f16_e32 v56, v78, v69
	v_sub_f16_e32 v71, v12, v71
	v_sub_f16_e32 v74, v74, v82
	v_fma_f16 v82, -0.5, v67, v5
	v_sub_f16_e32 v12, v75, v70
	v_sub_f16_e32 v67, v78, v69
	v_add_f16_e32 v69, v79, v45
	v_sub_f16_e32 v75, v47, v45
	v_sub_f16_e32 v78, v50, v48
	v_add_f16_e32 v79, v47, v50
	v_fmac_f16_e32 v68, 0x34f2, v87
	v_fmac_f16_e32 v85, 0x3b9c, v87
	;; [unrolled: 1-line block ×3, first 2 shown]
	v_sub_f16_e32 v83, v43, v49
	v_add_f16_e32 v75, v75, v78
	v_fmac_f16_e32 v5, -0.5, v79
	v_sub_f16_e32 v78, v45, v47
	v_sub_f16_e32 v79, v48, v50
	v_add_f16_e32 v89, v76, v68
	v_add_f16_e32 v64, v80, v85
	v_sub_f16_e32 v76, v76, v68
	v_sub_f16_e32 v68, v80, v85
	v_fmamk_f16 v70, v83, 0xbb9c, v82
	v_sub_f16_e32 v80, v44, v46
	v_fmac_f16_e32 v82, 0x3b9c, v83
	v_add_f16_e32 v78, v78, v79
	v_add_f16_e32 v79, v13, v43
	;; [unrolled: 1-line block ×4, first 2 shown]
	v_fmac_f16_e32 v70, 0xb8b4, v80
	v_sub_f16_e32 v69, v81, v72
	v_fmamk_f16 v72, v80, 0x3b9c, v5
	v_fmac_f16_e32 v82, 0x38b4, v80
	v_fmac_f16_e32 v5, 0xbb9c, v80
	v_add_f16_e32 v80, v44, v46
	v_add_f16_e32 v79, v79, v44
	;; [unrolled: 1-line block ×3, first 2 shown]
	v_sub_f16_e32 v47, v47, v50
	v_fmac_f16_e32 v70, 0x34f2, v75
	v_fma_f16 v80, -0.5, v80, v13
	v_add_f16_e32 v50, v79, v46
	v_add_f16_e32 v79, v43, v49
	v_fmac_f16_e32 v72, 0xb8b4, v83
	v_fmac_f16_e32 v82, 0x34f2, v75
	;; [unrolled: 1-line block ×3, first 2 shown]
	v_fmamk_f16 v75, v47, 0x3b9c, v80
	v_sub_f16_e32 v45, v45, v48
	v_fmac_f16_e32 v13, -0.5, v79
	v_fmac_f16_e32 v80, 0xbb9c, v47
	v_fmac_f16_e32 v72, 0x34f2, v78
	v_sub_f16_e32 v48, v43, v44
	v_sub_f16_e32 v83, v49, v46
	v_fmac_f16_e32 v5, 0x34f2, v78
	v_fmac_f16_e32 v75, 0x38b4, v45
	v_fmamk_f16 v78, v45, 0xbb9c, v13
	v_sub_f16_e32 v43, v44, v43
	v_sub_f16_e32 v44, v46, v49
	v_add_f16_e32 v46, v15, v19
	v_fmac_f16_e32 v80, 0xb8b4, v45
	v_fmac_f16_e32 v13, 0x3b9c, v45
	v_add_f16_e32 v45, v21, v22
	v_add_f16_e32 v48, v48, v83
	v_fmac_f16_e32 v78, 0x38b4, v47
	v_add_f16_e32 v43, v43, v44
	v_add_f16_e32 v44, v46, v21
	v_fmac_f16_e32 v13, 0xb8b4, v47
	v_add_f16_e32 v46, v19, v38
	v_fma_f16 v45, -0.5, v45, v15
	v_sub_f16_e32 v47, v18, v37
	v_add_f16_e32 v50, v50, v49
	v_fmac_f16_e32 v75, 0x34f2, v48
	v_fmac_f16_e32 v80, 0x34f2, v48
	;; [unrolled: 1-line block ×4, first 2 shown]
	v_sub_f16_e32 v43, v17, v20
	v_fmac_f16_e32 v15, -0.5, v46
	v_sub_f16_e32 v46, v19, v21
	v_sub_f16_e32 v48, v38, v22
	v_fmamk_f16 v49, v47, 0xbb9c, v45
	v_fmac_f16_e32 v45, 0x3b9c, v47
	v_add_f16_e32 v44, v44, v22
	v_fmamk_f16 v79, v43, 0x3b9c, v15
	v_add_f16_e32 v46, v46, v48
	v_fmac_f16_e32 v49, 0xb8b4, v43
	v_fmac_f16_e32 v45, 0x38b4, v43
	v_sub_f16_e32 v83, v21, v19
	v_sub_f16_e32 v48, v22, v38
	v_fmac_f16_e32 v15, 0xbb9c, v43
	v_fmac_f16_e32 v49, 0x34f2, v46
	v_add_f16_e32 v43, v17, v20
	v_fmac_f16_e32 v45, 0x34f2, v46
	v_add_f16_e32 v46, v18, v37
	v_add_f16_e32 v44, v44, v38
	v_fmac_f16_e32 v79, 0xb8b4, v47
	v_add_f16_e32 v48, v83, v48
	v_fmac_f16_e32 v15, 0x38b4, v47
	v_fma_f16 v43, -0.5, v43, v16
	v_sub_f16_e32 v19, v19, v38
	v_add_f16_e32 v38, v16, v18
	v_sub_f16_e32 v21, v21, v22
	v_fmac_f16_e32 v16, -0.5, v46
	v_fmac_f16_e32 v79, 0x34f2, v48
	v_fmac_f16_e32 v15, 0x34f2, v48
	v_fmamk_f16 v22, v19, 0x3b9c, v43
	v_sub_f16_e32 v46, v18, v17
	v_sub_f16_e32 v47, v37, v20
	v_fmamk_f16 v48, v21, 0xbb9c, v16
	v_sub_f16_e32 v18, v17, v18
	v_sub_f16_e32 v83, v20, v37
	v_fmac_f16_e32 v16, 0x3b9c, v21
	v_fmac_f16_e32 v22, 0x38b4, v21
	v_add_f16_e32 v46, v46, v47
	v_fmac_f16_e32 v43, 0xbb9c, v19
	v_add_f16_e32 v18, v18, v83
	v_fmac_f16_e32 v16, 0xb8b4, v19
	v_fmac_f16_e32 v48, 0x38b4, v19
	v_add_f16_e32 v17, v38, v17
	v_fmac_f16_e32 v22, 0x34f2, v46
	v_fmac_f16_e32 v43, 0xb8b4, v21
	;; [unrolled: 1-line block ×4, first 2 shown]
	v_add_f16_e32 v17, v17, v20
	v_mul_f16_e32 v18, 0xb8b4, v22
	v_fmac_f16_e32 v43, 0x34f2, v46
	v_mul_f16_e32 v20, 0xbb9c, v16
	v_mul_f16_e32 v22, 0x3a79, v22
	;; [unrolled: 1-line block ×4, first 2 shown]
	v_fmac_f16_e32 v18, 0x3a79, v49
	v_mul_f16_e32 v21, 0xb8b4, v43
	v_mul_f16_e32 v48, 0x34f2, v48
	v_fmac_f16_e32 v22, 0x38b4, v49
	v_fmac_f16_e32 v16, 0x3b9c, v15
	;; [unrolled: 1-line block ×4, first 2 shown]
	v_add_f16_e32 v38, v70, v18
	v_fmac_f16_e32 v21, 0xba79, v45
	v_fmac_f16_e32 v48, 0x3b9c, v79
	v_add_f16_e32 v79, v75, v22
	v_add_f16_e32 v86, v13, v16
	v_sub_f16_e32 v18, v70, v18
	v_sub_f16_e32 v70, v75, v22
	;; [unrolled: 1-line block ×3, first 2 shown]
	v_add3_u32 v13, 0, v9, v8
	v_lshlrev_b32_e32 v8, 1, v11
	v_add_f16_e32 v47, v5, v20
	v_sub_f16_e32 v5, v5, v20
	v_add_f16_e32 v17, v17, v37
	v_add_f16_e32 v37, v81, v44
	;; [unrolled: 1-line block ×3, first 2 shown]
	v_mul_f16_e32 v43, 0xba79, v43
	v_add_f16_e32 v83, v82, v21
	v_sub_f16_e32 v44, v81, v44
	v_sub_f16_e32 v19, v72, v19
	;; [unrolled: 1-line block ×3, first 2 shown]
	s_barrier
	buffer_gl0_inv
	ds_store_b16 v6, v51
	ds_store_b16 v6, v52 offset:18
	ds_store_b16 v6, v53 offset:36
	;; [unrolled: 1-line block ×9, first 2 shown]
	v_add3_u32 v10, 0, v7, v8
	ds_store_b16 v13, v84
	ds_store_b16 v13, v88 offset:18
	ds_store_b16 v13, v89 offset:36
	;; [unrolled: 1-line block ×9, first 2 shown]
	ds_store_b16 v10, v37
	ds_store_b16 v10, v38 offset:18
	ds_store_b16 v10, v46 offset:36
	;; [unrolled: 1-line block ×9, first 2 shown]
	v_add_nc_u32_e32 v5, 0xffffffa6, v25
	v_fmac_f16_e32 v43, 0x38b4, v45
	v_add_f16_e32 v15, v50, v17
	v_add_f16_e32 v85, v78, v48
	v_sub_f16_e32 v17, v50, v17
	v_cndmask_b32_e64 v8, v5, v25, s0
	v_add_f16_e32 v81, v80, v43
	v_sub_f16_e32 v72, v78, v48
	v_sub_f16_e32 v78, v80, v43
	s_waitcnt lgkmcnt(0)
	s_barrier
	buffer_gl0_inv
	ds_load_u16 v51, v0 offset:1512
	ds_load_u16 v19, v0
	ds_load_u16 v16, v0 offset:216
	ds_load_u16 v11, v0 offset:432
	ds_load_u16 v9, v0 offset:648
	ds_load_u16 v48, v0 offset:1728
	ds_load_u16 v53, v0 offset:2592
	ds_load_u16 v47, v0 offset:2808
	ds_load_u16 v54, v0 offset:3456
	ds_load_u16 v52, v0 offset:3672
	ds_load_u16 v44, v0 offset:3888
	ds_load_u16 v49, v0 offset:4752
	ds_load_u16 v43, v0 offset:4968
	ds_load_u16 v71, v0 offset:1296
	ds_load_u16 v73, v0 offset:1080
	ds_load_u16 v7, v0 offset:864
	ds_load_u16 v74, v0 offset:3240
	ds_load_u16 v22, v0 offset:3024
	ds_load_u16 v76, v0 offset:2376
	ds_load_u16 v77, v0 offset:2160
	ds_load_u16 v38, v0 offset:1944
	ds_load_u16 v57, v0 offset:4536
	ds_load_u16 v80, v0 offset:4320
	ds_load_u16 v37, v0 offset:4104
	ds_load_u16 v46, v0 offset:5832
	ds_load_u16 v45, v0 offset:6048
	ds_load_u16 v21, v0 offset:6264
	ds_load_u16 v58, v0 offset:5616
	ds_load_u16 v82, v0 offset:5400
	ds_load_u16 v50, v0 offset:5184
	s_waitcnt lgkmcnt(0)
	s_barrier
	buffer_gl0_inv
	ds_store_b16 v6, v23
	ds_store_b16 v6, v24 offset:18
	ds_store_b16 v6, v34 offset:36
	;; [unrolled: 1-line block ×9, first 2 shown]
	v_mul_i32_i24_e32 v5, 5, v8
	v_mov_b32_e32 v6, 0
	v_mul_lo_u16 v14, 0xb7, v33
	v_add_f16_e32 v65, v63, v91
	v_sub_f16_e32 v63, v63, v91
	ds_store_b16 v13, v55
	ds_store_b16 v13, v56 offset:18
	ds_store_b16 v13, v64 offset:36
	;; [unrolled: 1-line block ×9, first 2 shown]
	v_lshlrev_b64 v[12:13], 2, v[5:6]
	v_lshrrev_b16 v5, 14, v14
	ds_store_b16 v10, v15
	ds_store_b16 v10, v79 offset:18
	ds_store_b16 v10, v85 offset:36
	;; [unrolled: 1-line block ×9, first 2 shown]
	s_waitcnt lgkmcnt(0)
	s_barrier
	v_mul_lo_u16 v10, 0x5a, v5
	v_add_co_u32 v17, s0, s8, v12
	s_delay_alu instid0(VALU_DEP_1) | instskip(NEXT) | instid1(VALU_DEP_3)
	v_add_co_ci_u32_e64 v18, s0, s9, v13, s0
	v_sub_nc_u16 v10, v27, v10
	buffer_gl0_inv
	v_mul_u32_u24_e32 v12, 0x2d83, v31
	s_clause 0x1
	global_load_b128 v[33:36], v[17:18], off offset:348
	global_load_b32 v24, v[17:18], off offset:364
	v_and_b32_e32 v10, 0xff, v10
	v_and_b32_e32 v5, 0xffff, v5
	v_lshrrev_b32_e32 v12, 20, v12
	v_cmp_lt_u32_e64 s0, 0x59, v25
	v_lshlrev_b32_e32 v8, 1, v8
	v_mul_u32_u24_e32 v13, 5, v10
	v_mul_u32_u24_e32 v5, 0x438, v5
	v_lshlrev_b32_e32 v10, 1, v10
	s_delay_alu instid0(VALU_DEP_3) | instskip(SKIP_1) | instid1(VALU_DEP_3)
	v_lshlrev_b32_e32 v20, 2, v13
	v_mul_lo_u16 v13, 0x5a, v12
	v_add3_u32 v5, 0, v5, v10
	s_clause 0x1
	global_load_b128 v[39:42], v20, s[8:9] offset:348
	global_load_b32 v27, v20, s[8:9] offset:364
	v_sub_nc_u16 v13, v29, v13
	s_delay_alu instid0(VALU_DEP_1) | instskip(NEXT) | instid1(VALU_DEP_1)
	v_and_b32_e32 v13, 0xffff, v13
	v_mul_u32_u24_e32 v14, 5, v13
	v_lshlrev_b32_e32 v10, 1, v13
	s_delay_alu instid0(VALU_DEP_2)
	v_lshlrev_b32_e32 v23, 2, v14
	v_mul_u32_u24_e32 v14, 0x2d83, v32
	global_load_b128 v[59:62], v23, s[8:9] offset:348
	v_lshrrev_b32_e32 v14, 20, v14
	global_load_b32 v23, v23, s[8:9] offset:364
	v_mul_lo_u16 v15, 0x5a, v14
	s_delay_alu instid0(VALU_DEP_1) | instskip(NEXT) | instid1(VALU_DEP_1)
	v_sub_nc_u16 v15, v30, v15
	v_and_b32_e32 v15, 0xffff, v15
	s_delay_alu instid0(VALU_DEP_1) | instskip(NEXT) | instid1(VALU_DEP_1)
	v_mul_u32_u24_e32 v17, 5, v15
	v_lshlrev_b32_e32 v20, 2, v17
	v_mul_u32_u24_e32 v17, 0x2d83, v28
	s_clause 0x1
	global_load_b128 v[29:32], v20, s[8:9] offset:348
	global_load_b32 v55, v20, s[8:9] offset:364
	v_lshrrev_b32_e32 v17, 20, v17
	s_delay_alu instid0(VALU_DEP_1) | instskip(NEXT) | instid1(VALU_DEP_1)
	v_mul_lo_u16 v18, 0x5a, v17
	v_sub_nc_u16 v18, v26, v18
	s_delay_alu instid0(VALU_DEP_1) | instskip(NEXT) | instid1(VALU_DEP_1)
	v_and_b32_e32 v18, 0xffff, v18
	v_mul_u32_u24_e32 v28, 5, v18
	s_delay_alu instid0(VALU_DEP_1)
	v_lshlrev_b32_e32 v20, 2, v28
	s_clause 0x1
	global_load_b128 v[63:66], v20, s[8:9] offset:348
	global_load_b32 v28, v20, s[8:9] offset:364
	ds_load_u16 v56, v0 offset:1080
	ds_load_u16 v67, v0 offset:2160
	;; [unrolled: 1-line block ×12, first 2 shown]
	s_waitcnt vmcnt(9)
	v_lshrrev_b32_e32 v83, 16, v34
	v_lshrrev_b32_e32 v75, 16, v33
	;; [unrolled: 1-line block ×3, first 2 shown]
	s_waitcnt lgkmcnt(10)
	s_delay_alu instid0(VALU_DEP_3) | instskip(SKIP_3) | instid1(VALU_DEP_4)
	v_mul_f16_e32 v88, v67, v83
	v_mul_f16_e32 v83, v77, v83
	;; [unrolled: 1-line block ×4, first 2 shown]
	v_fmac_f16_e32 v88, v77, v34
	s_delay_alu instid0(VALU_DEP_4)
	v_fma_f16 v34, v67, v34, -v83
	ds_load_u16 v67, v0 offset:3456
	v_fmac_f16_e32 v84, v73, v33
	v_lshrrev_b32_e32 v73, 16, v36
	v_fma_f16 v33, v56, v33, -v75
	s_waitcnt lgkmcnt(10)
	v_mul_f16_e32 v56, v68, v85
	v_mul_f16_e32 v75, v74, v85
	s_waitcnt vmcnt(7)
	v_lshrrev_b32_e32 v91, 16, v39
	s_waitcnt lgkmcnt(7)
	v_mul_f16_e32 v90, v72, v73
	v_mul_f16_e32 v73, v80, v73
	ds_load_u16 v77, v0 offset:4536
	ds_load_u16 v83, v0 offset:4752
	;; [unrolled: 1-line block ×4, first 2 shown]
	v_fmac_f16_e32 v56, v74, v35
	v_fma_f16 v35, v68, v35, -v75
	v_fmac_f16_e32 v90, v80, v36
	v_mul_f16_e32 v68, v69, v91
	v_fma_f16 v36, v72, v36, -v73
	v_mul_f16_e32 v73, v71, v91
	v_lshrrev_b32_e32 v74, 16, v40
	v_lshrrev_b32_e32 v72, 16, v41
	v_fmac_f16_e32 v68, v71, v39
	v_lshrrev_b32_e32 v75, 16, v42
	v_fma_f16 v39, v69, v39, -v73
	ds_load_u16 v69, v0 offset:3672
	ds_load_u16 v73, v0 offset:3888
	s_waitcnt lgkmcnt(12)
	v_mul_f16_e32 v71, v78, v74
	v_mul_f16_e32 v74, v76, v74
	s_waitcnt lgkmcnt(6)
	v_mul_f16_e32 v80, v67, v72
	v_mul_f16_e32 v72, v54, v72
	v_fmac_f16_e32 v71, v76, v40
	v_fma_f16 v40, v78, v40, -v74
	s_waitcnt lgkmcnt(5)
	v_mul_f16_e32 v74, v77, v75
	v_fmac_f16_e32 v80, v54, v41
	s_waitcnt vmcnt(5)
	v_lshrrev_b32_e32 v54, 16, v59
	v_mul_f16_e32 v75, v57, v75
	v_fma_f16 v41, v67, v41, -v72
	v_fmac_f16_e32 v74, v57, v42
	v_lshrrev_b32_e32 v57, 16, v60
	v_mul_f16_e32 v67, v70, v54
	v_mul_f16_e32 v54, v51, v54
	v_lshrrev_b32_e32 v76, 16, v61
	v_fma_f16 v42, v77, v42, -v75
	ds_load_u16 v72, v0 offset:5400
	ds_load_u16 v75, v0 offset:5616
	v_mul_f16_e32 v77, v79, v57
	v_fmac_f16_e32 v67, v51, v59
	v_fma_f16 v54, v70, v59, -v54
	s_waitcnt lgkmcnt(3)
	v_mul_f16_e32 v59, v69, v76
	v_mul_f16_e32 v57, v53, v57
	v_fmac_f16_e32 v77, v53, v60
	v_mul_f16_e32 v53, v52, v76
	v_lshrrev_b32_e32 v51, 16, v62
	v_fmac_f16_e32 v59, v52, v61
	ds_load_u16 v52, v0 offset:1728
	v_fma_f16 v57, v79, v60, -v57
	v_fma_f16 v53, v69, v61, -v53
	v_mul_f16_e32 v60, v83, v51
	v_mul_f16_e32 v51, v49, v51
	v_lshrrev_b32_e32 v61, 16, v24
	v_lshrrev_b32_e32 v69, 16, v27
	ds_load_u16 v70, v0 offset:5832
	ds_load_u16 v76, v0 offset:6048
	;; [unrolled: 1-line block ×4, first 2 shown]
	v_fmac_f16_e32 v60, v49, v62
	v_fma_f16 v49, v83, v62, -v51
	s_waitcnt lgkmcnt(6)
	v_mul_f16_e32 v91, v72, v61
	v_mul_f16_e32 v51, v82, v61
	s_waitcnt lgkmcnt(5)
	v_mul_f16_e32 v61, v75, v69
	s_waitcnt vmcnt(3)
	v_lshrrev_b32_e32 v62, 16, v29
	v_mul_f16_e32 v69, v58, v69
	v_fmac_f16_e32 v91, v82, v24
	v_fma_f16 v24, v72, v24, -v51
	v_fmac_f16_e32 v61, v58, v27
	v_lshrrev_b32_e32 v51, 16, v30
	v_fma_f16 v27, v75, v27, -v69
	s_waitcnt lgkmcnt(4)
	v_mul_f16_e32 v58, v52, v62
	v_mul_f16_e32 v62, v48, v62
	v_lshrrev_b32_e32 v69, 16, v31
	v_mul_f16_e32 v72, v81, v51
	v_mul_f16_e32 v51, v47, v51
	v_fmac_f16_e32 v58, v48, v29
	v_lshrrev_b32_e32 v48, 16, v32
	v_fma_f16 v29, v52, v29, -v62
	v_fmac_f16_e32 v72, v47, v30
	v_fma_f16 v30, v81, v30, -v51
	v_mul_f16_e32 v47, v73, v69
	v_mul_f16_e32 v51, v85, v48
	v_lshrrev_b32_e32 v52, 16, v23
	v_mul_f16_e32 v48, v43, v48
	v_mul_f16_e32 v62, v44, v69
	v_fmac_f16_e32 v47, v44, v31
	v_fmac_f16_e32 v51, v43, v32
	s_waitcnt vmcnt(2)
	v_lshrrev_b32_e32 v43, 16, v55
	s_waitcnt lgkmcnt(3)
	v_mul_f16_e32 v44, v70, v52
	v_mul_f16_e32 v52, v46, v52
	v_fma_f16 v31, v73, v31, -v62
	v_fma_f16 v32, v85, v32, -v48
	s_waitcnt lgkmcnt(2)
	v_mul_f16_e32 v75, v76, v43
	v_fmac_f16_e32 v44, v46, v23
	v_mul_f16_e32 v43, v45, v43
	s_waitcnt vmcnt(1)
	v_lshrrev_b32_e32 v46, 16, v63
	v_fma_f16 v23, v70, v23, -v52
	v_fmac_f16_e32 v75, v45, v55
	v_lshrrev_b32_e32 v45, 16, v64
	v_fma_f16 v43, v76, v55, -v43
	v_lshrrev_b32_e32 v52, 16, v65
	v_mul_f16_e32 v55, v87, v46
	v_mul_f16_e32 v46, v38, v46
	;; [unrolled: 1-line block ×3, first 2 shown]
	v_lshrrev_b32_e32 v76, 16, v66
	v_mul_f16_e32 v45, v22, v45
	v_fmac_f16_e32 v55, v38, v63
	v_fma_f16 v38, v87, v63, -v46
	v_fmac_f16_e32 v70, v22, v64
	v_mul_f16_e32 v22, v89, v52
	v_mul_f16_e32 v46, v37, v52
	s_waitcnt vmcnt(0)
	v_lshrrev_b32_e32 v52, 16, v28
	s_waitcnt lgkmcnt(0)
	v_mul_f16_e32 v63, v79, v76
	ds_load_u16 v48, v0
	ds_load_u16 v62, v0 offset:216
	ds_load_u16 v69, v0 offset:432
	v_fma_f16 v45, v86, v64, -v45
	v_fmac_f16_e32 v22, v37, v65
	v_mul_f16_e32 v37, v50, v76
	v_mul_f16_e32 v64, v78, v52
	v_fmac_f16_e32 v63, v50, v66
	v_mul_f16_e32 v50, v21, v52
	v_add_f16_e32 v52, v88, v90
	v_fma_f16 v46, v89, v65, -v46
	v_fmac_f16_e32 v64, v21, v28
	v_add_f16_e32 v21, v19, v88
	v_fma_f16 v28, v78, v28, -v50
	v_fmac_f16_e32 v19, -0.5, v52
	v_sub_f16_e32 v52, v34, v36
	v_add_f16_e32 v50, v34, v36
	v_fma_f16 v37, v79, v66, -v37
	v_add_f16_e32 v66, v56, v91
	v_add_f16_e32 v76, v33, v35
	v_fmamk_f16 v65, v52, 0xbaee, v19
	v_fmac_f16_e32 v19, 0x3aee, v52
	v_add_f16_e32 v52, v35, v24
	s_waitcnt lgkmcnt(2)
	v_add_f16_e32 v34, v48, v34
	v_fmac_f16_e32 v48, -0.5, v50
	v_sub_f16_e32 v50, v88, v90
	v_add_f16_e32 v21, v21, v90
	v_fmac_f16_e32 v33, -0.5, v52
	v_sub_f16_e32 v52, v56, v91
	v_add_f16_e32 v56, v84, v56
	v_add_f16_e32 v34, v34, v36
	v_fmamk_f16 v36, v50, 0x3aee, v48
	v_fmac_f16_e32 v84, -0.5, v66
	v_sub_f16_e32 v35, v35, v24
	v_fmac_f16_e32 v48, 0xbaee, v50
	v_fmamk_f16 v50, v52, 0x3aee, v33
	v_fmac_f16_e32 v33, 0xbaee, v52
	v_add_f16_e32 v52, v56, v91
	v_add_f16_e32 v24, v76, v24
	v_fmamk_f16 v56, v35, 0xbaee, v84
	v_fmac_f16_e32 v84, 0x3aee, v35
	v_mul_f16_e32 v35, 0xbaee, v50
	v_mul_f16_e32 v66, 0xbaee, v33
	v_mul_f16_e32 v50, 0.5, v50
	v_mul_f16_e32 v33, -0.5, v33
	v_add_f16_e32 v76, v21, v52
	v_add_f16_e32 v79, v34, v24
	v_sub_f16_e32 v21, v21, v52
	v_sub_f16_e32 v52, v34, v24
	v_add_f16_e32 v24, v71, v74
	v_fmac_f16_e32 v50, 0x3aee, v56
	v_fmac_f16_e32 v33, 0x3aee, v84
	v_add_f16_e32 v34, v16, v71
	v_fmac_f16_e32 v35, 0.5, v56
	v_fmac_f16_e32 v16, -0.5, v24
	v_sub_f16_e32 v24, v40, v42
	v_fmac_f16_e32 v66, -0.5, v84
	v_add_f16_e32 v81, v36, v50
	v_add_f16_e32 v82, v48, v33
	v_sub_f16_e32 v50, v36, v50
	v_sub_f16_e32 v48, v48, v33
	v_add_f16_e32 v33, v40, v42
	s_waitcnt lgkmcnt(1)
	v_add_f16_e32 v36, v62, v40
	v_fmamk_f16 v40, v24, 0xbaee, v16
	v_fmac_f16_e32 v16, 0x3aee, v24
	v_add_f16_e32 v24, v41, v27
	v_add_f16_e32 v56, v65, v35
	;; [unrolled: 1-line block ×3, first 2 shown]
	v_sub_f16_e32 v35, v65, v35
	v_sub_f16_e32 v19, v19, v66
	v_fmac_f16_e32 v62, -0.5, v33
	v_sub_f16_e32 v33, v71, v74
	v_add_f16_e32 v65, v80, v61
	v_add_f16_e32 v66, v39, v41
	v_fmac_f16_e32 v39, -0.5, v24
	v_sub_f16_e32 v24, v80, v61
	v_add_f16_e32 v36, v36, v42
	v_fmamk_f16 v42, v33, 0x3aee, v62
	v_add_f16_e32 v71, v68, v80
	v_fmac_f16_e32 v68, -0.5, v65
	v_sub_f16_e32 v41, v41, v27
	v_fmac_f16_e32 v62, 0xbaee, v33
	v_fmamk_f16 v33, v24, 0x3aee, v39
	v_fmac_f16_e32 v39, 0xbaee, v24
	v_add_f16_e32 v24, v71, v61
	v_fmamk_f16 v61, v41, 0xbaee, v68
	v_fmac_f16_e32 v68, 0x3aee, v41
	v_mul_f16_e32 v41, 0xbaee, v33
	v_add_f16_e32 v34, v34, v74
	v_add_f16_e32 v27, v66, v27
	v_mul_f16_e32 v33, 0.5, v33
	v_mul_f16_e32 v65, 0xbaee, v39
	v_fmac_f16_e32 v41, 0.5, v61
	v_add_f16_e32 v66, v34, v24
	v_add_f16_e32 v71, v36, v27
	v_fmac_f16_e32 v33, 0x3aee, v61
	v_sub_f16_e32 v24, v34, v24
	v_add_f16_e32 v61, v40, v41
	v_sub_f16_e32 v34, v40, v41
	v_sub_f16_e32 v40, v36, v27
	v_add_f16_e32 v27, v77, v60
	v_mul_f16_e32 v39, -0.5, v39
	v_add_f16_e32 v74, v42, v33
	v_sub_f16_e32 v41, v42, v33
	v_add_f16_e32 v33, v11, v77
	v_fmac_f16_e32 v11, -0.5, v27
	v_sub_f16_e32 v27, v57, v49
	v_fmac_f16_e32 v39, 0x3aee, v68
	v_add_f16_e32 v36, v57, v49
	s_waitcnt lgkmcnt(0)
	v_add_f16_e32 v42, v69, v57
	v_add_f16_e32 v33, v33, v60
	v_fmamk_f16 v57, v27, 0xbaee, v11
	v_fmac_f16_e32 v11, 0x3aee, v27
	v_add_f16_e32 v27, v53, v23
	v_add_f16_e32 v80, v62, v39
	v_sub_f16_e32 v39, v62, v39
	v_fmac_f16_e32 v69, -0.5, v36
	v_sub_f16_e32 v36, v77, v60
	v_add_f16_e32 v60, v59, v44
	v_add_f16_e32 v62, v54, v53
	v_fmac_f16_e32 v54, -0.5, v27
	v_sub_f16_e32 v27, v59, v44
	ds_load_u16 v73, v0 offset:648
	v_add_f16_e32 v42, v42, v49
	v_fmamk_f16 v49, v36, 0x3aee, v69
	v_add_f16_e32 v59, v67, v59
	v_fmac_f16_e32 v67, -0.5, v60
	v_sub_f16_e32 v53, v53, v23
	v_fmac_f16_e32 v69, 0xbaee, v36
	v_fmamk_f16 v36, v27, 0x3aee, v54
	v_fmac_f16_e32 v54, 0xbaee, v27
	v_fmac_f16_e32 v65, -0.5, v68
	v_add_f16_e32 v27, v59, v44
	v_fmamk_f16 v44, v53, 0xbaee, v67
	v_fmac_f16_e32 v67, 0x3aee, v53
	v_mul_f16_e32 v53, 0xbaee, v36
	v_mul_f16_e32 v59, 0xbaee, v54
	v_add_f16_e32 v23, v62, v23
	v_mul_f16_e32 v36, 0.5, v36
	v_mul_f16_e32 v54, -0.5, v54
	v_add_f16_e32 v68, v16, v65
	v_sub_f16_e32 v16, v16, v65
	v_fmac_f16_e32 v53, 0.5, v44
	v_fmac_f16_e32 v36, 0x3aee, v44
	v_fmac_f16_e32 v54, 0x3aee, v67
	v_add_f16_e32 v65, v42, v23
	v_sub_f16_e32 v42, v42, v23
	v_add_f16_e32 v23, v72, v51
	v_fmac_f16_e32 v59, -0.5, v67
	v_add_f16_e32 v60, v33, v27
	v_add_f16_e32 v44, v57, v53
	;; [unrolled: 1-line block ×4, first 2 shown]
	v_sub_f16_e32 v27, v33, v27
	v_sub_f16_e32 v33, v57, v53
	;; [unrolled: 1-line block ×3, first 2 shown]
	v_add_f16_e32 v36, v9, v72
	v_sub_f16_e32 v53, v69, v54
	v_add_f16_e32 v54, v30, v32
	v_fmac_f16_e32 v9, -0.5, v23
	v_sub_f16_e32 v23, v30, v32
	s_waitcnt lgkmcnt(0)
	v_add_f16_e32 v30, v73, v30
	v_add_f16_e32 v62, v11, v59
	v_fmac_f16_e32 v73, -0.5, v54
	v_sub_f16_e32 v11, v11, v59
	v_fmamk_f16 v54, v23, 0xbaee, v9
	v_fmac_f16_e32 v9, 0x3aee, v23
	v_add_f16_e32 v23, v31, v43
	v_add_f16_e32 v36, v36, v51
	v_sub_f16_e32 v51, v72, v51
	v_add_f16_e32 v57, v47, v75
	v_add_f16_e32 v59, v29, v31
	v_fmac_f16_e32 v29, -0.5, v23
	v_sub_f16_e32 v23, v47, v75
	v_add_f16_e32 v30, v30, v32
	v_fmamk_f16 v32, v51, 0x3aee, v73
	v_add_f16_e32 v47, v58, v47
	v_fmac_f16_e32 v58, -0.5, v57
	v_sub_f16_e32 v31, v31, v43
	v_fmac_f16_e32 v73, 0xbaee, v51
	v_fmamk_f16 v51, v23, 0x3aee, v29
	v_fmac_f16_e32 v29, 0xbaee, v23
	v_add_f16_e32 v23, v47, v75
	v_fmamk_f16 v47, v31, 0xbaee, v58
	v_fmac_f16_e32 v58, 0x3aee, v31
	v_mul_f16_e32 v31, 0xbaee, v51
	v_add_f16_e32 v43, v59, v43
	v_mul_f16_e32 v51, 0.5, v51
	v_mul_f16_e32 v57, 0xbaee, v29
	v_mul_f16_e32 v29, -0.5, v29
	v_fmac_f16_e32 v31, 0.5, v47
	v_add_f16_e32 v69, v30, v43
	v_fmac_f16_e32 v51, 0x3aee, v47
	v_sub_f16_e32 v43, v30, v43
	v_add_f16_e32 v30, v70, v63
	v_fmac_f16_e32 v29, 0x3aee, v58
	v_fmac_f16_e32 v57, -0.5, v58
	v_add_f16_e32 v72, v32, v51
	v_sub_f16_e32 v51, v32, v51
	v_add_f16_e32 v32, v7, v70
	v_fmac_f16_e32 v7, -0.5, v30
	v_sub_f16_e32 v30, v45, v37
	v_add_f16_e32 v59, v36, v23
	v_add_f16_e32 v47, v54, v31
	;; [unrolled: 1-line block ×3, first 2 shown]
	v_sub_f16_e32 v23, v36, v23
	v_sub_f16_e32 v31, v54, v31
	;; [unrolled: 1-line block ×3, first 2 shown]
	v_add_f16_e32 v29, v45, v37
	v_add_f16_e32 v36, v20, v45
	v_fmamk_f16 v45, v30, 0xbaee, v7
	v_fmac_f16_e32 v7, 0x3aee, v30
	v_add_f16_e32 v30, v46, v28
	v_add_f16_e32 v58, v9, v57
	v_sub_f16_e32 v9, v9, v57
	v_add_f16_e32 v32, v32, v63
	v_fmac_f16_e32 v20, -0.5, v29
	v_sub_f16_e32 v29, v70, v63
	v_add_f16_e32 v57, v22, v64
	v_add_f16_e32 v63, v38, v46
	v_fmac_f16_e32 v38, -0.5, v30
	v_sub_f16_e32 v30, v22, v64
	v_add_f16_e32 v36, v36, v37
	v_fmamk_f16 v37, v29, 0x3aee, v20
	v_add_f16_e32 v22, v55, v22
	v_fmac_f16_e32 v55, -0.5, v57
	v_sub_f16_e32 v46, v46, v28
	v_fmac_f16_e32 v20, 0xbaee, v29
	v_fmamk_f16 v29, v30, 0x3aee, v38
	v_fmac_f16_e32 v38, 0xbaee, v30
	s_delay_alu instid0(VALU_DEP_4) | instskip(SKIP_1) | instid1(VALU_DEP_4)
	v_fmamk_f16 v30, v46, 0xbaee, v55
	v_fmac_f16_e32 v55, 0x3aee, v46
	v_mul_f16_e32 v46, 0xbaee, v29
	s_delay_alu instid0(VALU_DEP_4)
	v_mul_f16_e32 v57, 0xbaee, v38
	v_mul_f16_e32 v38, -0.5, v38
	v_mul_f16_e32 v29, 0.5, v29
	s_barrier
	buffer_gl0_inv
	v_fmac_f16_e32 v57, -0.5, v55
	v_fmac_f16_e32 v38, 0x3aee, v55
	v_add_f16_e32 v22, v22, v64
	v_fmac_f16_e32 v46, 0.5, v30
	v_add_f16_e32 v28, v63, v28
	v_add_f16_e32 v55, v7, v57
	;; [unrolled: 1-line block ×3, first 2 shown]
	v_sub_f16_e32 v7, v7, v57
	v_sub_f16_e32 v57, v20, v38
	v_cndmask_b32_e64 v20, 0, 0x438, s0
	v_fmac_f16_e32 v29, 0x3aee, v30
	v_add_f16_e32 v63, v32, v22
	v_add_f16_e32 v30, v45, v46
	v_sub_f16_e32 v22, v32, v22
	v_add3_u32 v83, 0, v20, v8
	v_mul_u32_u24_e32 v8, 0x438, v12
	ds_store_b16 v83, v76
	ds_store_b16 v83, v56 offset:180
	ds_store_b16 v83, v78 offset:360
	;; [unrolled: 1-line block ×5, first 2 shown]
	v_add3_u32 v56, 0, v8, v10
	v_mul_u32_u24_e32 v8, 0x438, v14
	v_lshlrev_b32_e32 v10, 1, v15
	ds_store_b16 v5, v66
	ds_store_b16 v5, v61 offset:180
	ds_store_b16 v5, v68 offset:360
	;; [unrolled: 1-line block ×5, first 2 shown]
	v_sub_f16_e32 v32, v45, v46
	v_add_f16_e32 v64, v36, v28
	v_add_f16_e32 v70, v37, v29
	v_add3_u32 v61, 0, v8, v10
	v_mul_u32_u24_e32 v8, 0x438, v17
	v_lshlrev_b32_e32 v10, 1, v18
	v_sub_f16_e32 v45, v36, v28
	v_sub_f16_e32 v46, v37, v29
	ds_store_b16 v56, v60
	ds_store_b16 v56, v44 offset:180
	ds_store_b16 v56, v62 offset:360
	;; [unrolled: 1-line block ×5, first 2 shown]
	v_add3_u32 v44, 0, v8, v10
	ds_store_b16 v61, v59
	ds_store_b16 v61, v47 offset:180
	ds_store_b16 v61, v58 offset:360
	;; [unrolled: 1-line block ×5, first 2 shown]
	ds_store_b16 v44, v63
	ds_store_b16 v44, v30 offset:180
	ds_store_b16 v44, v55 offset:360
	;; [unrolled: 1-line block ×5, first 2 shown]
	s_waitcnt lgkmcnt(0)
	s_barrier
	buffer_gl0_inv
	ds_load_u16 v16, v0 offset:1512
	ds_load_u16 v7, v0
	ds_load_u16 v8, v0 offset:216
	ds_load_u16 v9, v0 offset:432
	ds_load_u16 v12, v0 offset:648
	ds_load_u16 v22, v0 offset:1728
	ds_load_u16 v17, v0 offset:2592
	ds_load_u16 v23, v0 offset:2808
	ds_load_u16 v10, v0 offset:3456
	ds_load_u16 v18, v0 offset:3672
	ds_load_u16 v24, v0 offset:3888
	ds_load_u16 v19, v0 offset:4752
	ds_load_u16 v27, v0 offset:4968
	ds_load_u16 v11, v0 offset:1296
	ds_load_u16 v29, v0 offset:1080
	ds_load_u16 v21, v0 offset:864
	ds_load_u16 v30, v0 offset:3240
	ds_load_u16 v34, v0 offset:3024
	ds_load_u16 v13, v0 offset:2376
	ds_load_u16 v31, v0 offset:2160
	ds_load_u16 v35, v0 offset:1944
	ds_load_u16 v14, v0 offset:4536
	ds_load_u16 v32, v0 offset:4320
	ds_load_u16 v36, v0 offset:4104
	ds_load_u16 v20, v0 offset:5832
	ds_load_u16 v28, v0 offset:6048
	ds_load_u16 v37, v0 offset:6264
	ds_load_u16 v15, v0 offset:5616
	ds_load_u16 v33, v0 offset:5400
	ds_load_u16 v38, v0 offset:5184
	s_waitcnt lgkmcnt(0)
	s_barrier
	buffer_gl0_inv
	ds_store_b16 v83, v79
	ds_store_b16 v83, v81 offset:180
	ds_store_b16 v83, v82 offset:360
	ds_store_b16 v83, v52 offset:540
	ds_store_b16 v83, v50 offset:720
	ds_store_b16 v83, v48 offset:900
	ds_store_b16 v5, v71
	ds_store_b16 v5, v74 offset:180
	ds_store_b16 v5, v80 offset:360
	ds_store_b16 v5, v40 offset:540
	ds_store_b16 v5, v41 offset:720
	ds_store_b16 v5, v39 offset:900
	;; [unrolled: 6-line block ×5, first 2 shown]
	s_waitcnt lgkmcnt(0)
	s_barrier
	buffer_gl0_inv
	s_and_saveexec_b32 s0, vcc_lo
	s_cbranch_execz .LBB0_15
; %bb.14:
	v_mul_u32_u24_e32 v5, 5, v26
	v_mul_u32_u24_e32 v39, 5, v25
	v_mul_lo_u32 v4, s2, v4
	v_lshlrev_b64 v[1:2], 2, v[1:2]
	s_delay_alu instid0(VALU_DEP_4) | instskip(NEXT) | instid1(VALU_DEP_4)
	v_lshlrev_b32_e32 v5, 2, v5
	v_lshlrev_b32_e32 v47, 2, v39
	s_clause 0x3
	global_load_b128 v[39:42], v5, s[8:9] offset:2148
	global_load_b32 v61, v5, s[8:9] offset:2164
	global_load_b128 v[43:46], v47, s[8:9] offset:2148
	global_load_b32 v62, v47, s[8:9] offset:2164
	v_mad_u32_u24 v5, v26, 5, 0xfffffde4
	s_delay_alu instid0(VALU_DEP_1) | instskip(SKIP_1) | instid1(VALU_DEP_2)
	v_lshlrev_b64 v[47:48], 2, v[5:6]
	v_mad_u32_u24 v5, v26, 5, 0xfffffbc8
	v_add_co_u32 v51, vcc_lo, s8, v47
	s_delay_alu instid0(VALU_DEP_3)
	v_add_co_ci_u32_e32 v52, vcc_lo, s9, v48, vcc_lo
	s_clause 0x1
	global_load_b128 v[47:50], v[51:52], off offset:2148
	global_load_b32 v63, v[51:52], off offset:2164
	v_lshlrev_b64 v[51:52], 2, v[5:6]
	v_mad_u32_u24 v5, v26, 5, 0xfffff9ac
	v_mul_lo_u32 v26, s3, v3
	s_delay_alu instid0(VALU_DEP_3) | instskip(NEXT) | instid1(VALU_DEP_4)
	v_add_co_u32 v55, vcc_lo, s8, v51
	v_add_co_ci_u32_e32 v56, vcc_lo, s9, v52, vcc_lo
	s_clause 0x1
	global_load_b128 v[51:54], v[55:56], off offset:2148
	global_load_b32 v64, v[55:56], off offset:2164
	v_lshlrev_b64 v[55:56], 2, v[5:6]
	s_delay_alu instid0(VALU_DEP_1) | instskip(NEXT) | instid1(VALU_DEP_2)
	v_add_co_u32 v59, vcc_lo, s8, v55
	v_add_co_ci_u32_e32 v60, vcc_lo, s9, v56, vcc_lo
	s_clause 0x1
	global_load_b128 v[55:58], v[59:60], off offset:2148
	global_load_b32 v5, v[59:60], off offset:2164
	v_mad_u64_u32 v[59:60], null, s2, v3, 0
	ds_load_u16 v3, v0 offset:5184
	ds_load_u16 v65, v0 offset:3240
	;; [unrolled: 1-line block ×24, first 2 shown]
	ds_load_u16 v88, v0
	ds_load_u16 v89, v0 offset:6264
	ds_load_u16 v90, v0 offset:6048
	;; [unrolled: 1-line block ×5, first 2 shown]
	v_add3_u32 v60, v60, v4, v26
	s_waitcnt vmcnt(9)
	v_lshrrev_b32_e32 v26, 16, v40
	v_lshrrev_b32_e32 v4, 16, v39
	;; [unrolled: 1-line block ×4, first 2 shown]
	s_waitcnt vmcnt(8)
	v_lshrrev_b32_e32 v95, 16, v61
	s_waitcnt vmcnt(7)
	v_lshrrev_b32_e32 v96, 16, v43
	v_lshrrev_b32_e32 v97, 16, v44
	;; [unrolled: 1-line block ×4, first 2 shown]
	s_waitcnt vmcnt(6)
	v_lshrrev_b32_e32 v100, 16, v62
	v_mul_f16_e32 v101, v34, v26
	v_mul_f16_e32 v102, v38, v94
	s_waitcnt lgkmcnt(27)
	v_mul_f16_e32 v26, v66, v26
	v_mul_f16_e32 v94, v3, v94
	s_waitcnt lgkmcnt(22)
	v_mul_f16_e32 v103, v4, v71
	s_waitcnt lgkmcnt(16)
	;; [unrolled: 2-line block ×3, first 2 shown]
	v_mul_f16_e32 v105, v95, v89
	v_mul_f16_e32 v93, v36, v93
	;; [unrolled: 1-line block ×10, first 2 shown]
	s_waitcnt lgkmcnt(0)
	v_mul_f16_e32 v110, v100, v0
	v_mul_f16_e32 v98, v30, v98
	;; [unrolled: 1-line block ×4, first 2 shown]
	s_waitcnt vmcnt(5)
	v_lshrrev_b32_e32 v111, 16, v47
	v_lshrrev_b32_e32 v112, 16, v48
	v_lshrrev_b32_e32 v113, 16, v49
	v_lshrrev_b32_e32 v114, 16, v50
	v_fma_f16 v66, v40, v66, -v101
	s_waitcnt vmcnt(4)
	v_lshrrev_b32_e32 v101, 16, v63
	v_fma_f16 v3, v42, v3, -v102
	v_fmac_f16_e32 v26, v34, v40
	v_fmac_f16_e32 v94, v38, v42
	v_fmac_f16_e32 v103, v35, v39
	v_fmac_f16_e32 v104, v36, v41
	v_fmac_f16_e32 v105, v37, v61
	v_fma_f16 v34, v41, v77, -v93
	v_fma_f16 v35, v61, v89, -v95
	;; [unrolled: 1-line block ×5, first 2 shown]
	v_fmac_f16_e32 v97, v31, v44
	v_fmac_f16_e32 v99, v32, v46
	;; [unrolled: 1-line block ×5, first 2 shown]
	v_fma_f16 v29, v45, v65, -v98
	v_fma_f16 v30, v62, v0, -v100
	;; [unrolled: 1-line block ×3, first 2 shown]
	v_mul_f16_e32 v0, v23, v112
	v_mul_f16_e32 v33, v67, v112
	;; [unrolled: 1-line block ×9, first 2 shown]
	s_waitcnt vmcnt(3)
	v_lshrrev_b32_e32 v45, 16, v51
	v_lshrrev_b32_e32 v46, 16, v52
	;; [unrolled: 1-line block ×4, first 2 shown]
	s_waitcnt vmcnt(2)
	v_lshrrev_b32_e32 v65, 16, v64
	v_mul_f16_e32 v32, v27, v114
	v_add_f16_e32 v70, v66, v3
	v_sub_f16_e32 v71, v26, v94
	v_sub_f16_e32 v77, v34, v35
	v_add_f16_e32 v83, v34, v35
	v_add_f16_e32 v93, v84, v66
	;; [unrolled: 1-line block ×7, first 2 shown]
	v_fma_f16 v0, v48, v67, -v0
	v_fmac_f16_e32 v33, v23, v48
	v_fmac_f16_e32 v38, v27, v50
	;; [unrolled: 1-line block ×5, first 2 shown]
	v_fma_f16 v22, v49, v78, -v42
	v_fma_f16 v23, v63, v90, -v43
	;; [unrolled: 1-line block ×3, first 2 shown]
	v_mul_f16_e32 v27, v17, v46
	v_mul_f16_e32 v28, v19, v62
	;; [unrolled: 1-line block ×10, first 2 shown]
	s_waitcnt vmcnt(1)
	v_lshrrev_b32_e32 v61, 16, v56
	v_lshrrev_b32_e32 v62, 16, v57
	;; [unrolled: 1-line block ×3, first 2 shown]
	s_waitcnt vmcnt(0)
	v_lshrrev_b32_e32 v65, 16, v5
	v_add_f16_e32 v76, v104, v105
	v_sub_f16_e32 v89, v104, v105
	v_sub_f16_e32 v66, v66, v3
	v_add_f16_e32 v100, v109, v110
	v_fma_f16 v32, v50, v73, -v32
	v_lshrrev_b32_e32 v50, 16, v55
	v_fma_f16 v67, -0.5, v70, v84
	v_fma_f16 v72, -0.5, v83, v4
	v_add_f16_e32 v4, v93, v3
	v_add_f16_e32 v34, v34, v35
	v_fma_f16 v21, -0.5, v95, v21
	v_add_f16_e32 v26, v26, v94
	v_add_f16_e32 v35, v96, v105
	v_fma_f16 v73, -0.5, v98, v88
	v_sub_f16_e32 v84, v33, v38
	v_add_f16_e32 v90, v40, v41
	v_sub_f16_e32 v93, v22, v23
	v_add_f16_e32 v94, v22, v23
	;; [unrolled: 2-line block ×3, first 2 shown]
	v_add_f16_e32 v22, v24, v22
	v_add_f16_e32 v98, v33, v38
	;; [unrolled: 1-line block ×4, first 2 shown]
	v_fma_f16 v27, v52, v68, -v27
	v_fma_f16 v28, v54, v74, -v28
	v_fmac_f16_e32 v42, v17, v52
	v_fmac_f16_e32 v43, v19, v54
	;; [unrolled: 1-line block ×5, first 2 shown]
	v_fma_f16 v17, v53, v79, -v48
	v_fma_f16 v18, v64, v91, -v49
	;; [unrolled: 1-line block ×3, first 2 shown]
	v_mul_f16_e32 v20, v13, v61
	v_mul_f16_e32 v45, v14, v63
	;; [unrolled: 1-line block ×7, first 2 shown]
	v_fma_f16 v70, -0.5, v76, v103
	v_fma_f16 v76, -0.5, v100, v108
	v_add_f16_e32 v83, v0, v32
	v_sub_f16_e32 v100, v0, v32
	v_mul_f16_e32 v49, v75, v63
	v_mul_f16_e32 v51, v50, v82
	;; [unrolled: 1-line block ×3, first 2 shown]
	v_fmamk_f16 v62, v71, 0xbaee, v67
	v_fmamk_f16 v64, v89, 0xbaee, v72
	v_fmac_f16_e32 v67, 0x3aee, v71
	v_fmamk_f16 v65, v66, 0x3aee, v21
	v_fmac_f16_e32 v21, 0xbaee, v66
	v_sub_f16_e32 v3, v26, v35
	v_add_f16_e32 v16, v26, v35
	v_fma_f16 v35, -0.5, v90, v39
	v_fma_f16 v24, -0.5, v94, v24
	v_add_f16_e32 v32, v96, v32
	v_add_f16_e32 v22, v22, v23
	v_fma_f16 v23, -0.5, v98, v12
	v_add_f16_e32 v12, v33, v38
	v_add_f16_e32 v33, v40, v41
	;; [unrolled: 1-line block ×3, first 2 shown]
	v_sub_f16_e32 v39, v42, v43
	v_add_f16_e32 v40, v46, v47
	v_sub_f16_e32 v41, v17, v18
	v_add_f16_e32 v66, v17, v18
	;; [unrolled: 2-line block ×3, first 2 shown]
	v_add_f16_e32 v17, v19, v17
	v_add_f16_e32 v74, v42, v43
	;; [unrolled: 1-line block ×4, first 2 shown]
	v_fma_f16 v20, v56, v69, -v20
	v_fma_f16 v45, v58, v75, -v45
	v_fmac_f16_e32 v52, v10, v57
	v_fmac_f16_e32 v53, v15, v5
	v_fma_f16 v10, v57, v80, -v54
	v_fma_f16 v5, v5, v92, -v61
	v_fmamk_f16 v63, v77, 0x3aee, v70
	v_fmac_f16_e32 v72, 0x3aee, v89
	v_sub_f16_e32 v27, v27, v28
	v_fmac_f16_e32 v48, v13, v56
	v_fmac_f16_e32 v49, v14, v58
	v_fmac_f16_e32 v51, v11, v55
	v_fma_f16 v11, v55, v82, -v50
	v_mul_f16_e32 v13, -0.5, v64
	v_mul_f16_e32 v54, 0xbaee, v64
	v_fmamk_f16 v58, v95, 0xbaee, v24
	v_fmac_f16_e32 v24, 0x3aee, v95
	v_sub_f16_e32 v14, v32, v22
	v_sub_f16_e32 v15, v12, v33
	v_add_f16_e32 v32, v32, v22
	v_add_f16_e32 v33, v12, v33
	v_fma_f16 v22, -0.5, v38, v86
	v_fma_f16 v38, -0.5, v40, v44
	;; [unrolled: 1-line block ×3, first 2 shown]
	v_add_f16_e32 v12, v71, v28
	v_add_f16_e32 v17, v17, v18
	v_fma_f16 v28, -0.5, v74, v9
	v_add_f16_e32 v9, v42, v43
	v_add_f16_e32 v18, v46, v47
	v_add_f16_e32 v40, v20, v45
	v_add_f16_e32 v43, v52, v53
	v_add_f16_e32 v46, v10, v5
	v_mul_f16_e32 v50, 0.5, v72
	v_mul_f16_e32 v55, 0xbaee, v72
	v_fmamk_f16 v57, v93, 0x3aee, v35
	v_fmac_f16_e32 v35, 0xbaee, v93
	v_sub_f16_e32 v42, v48, v49
	v_sub_f16_e32 v47, v52, v53
	v_add_f16_e32 v66, v48, v49
	v_add_f16_e32 v48, v8, v48
	;; [unrolled: 1-line block ×3, first 2 shown]
	v_fmac_f16_e32 v13, 0x3aee, v63
	v_fmac_f16_e32 v54, -0.5, v63
	v_mul_f16_e32 v63, -0.5, v58
	v_mul_f16_e32 v69, 0.5, v24
	v_mul_f16_e32 v58, 0xbaee, v58
	v_mul_f16_e32 v24, 0xbaee, v24
	v_fmamk_f16 v71, v41, 0x3aee, v38
	v_fmamk_f16 v72, v68, 0xbaee, v19
	v_fmac_f16_e32 v38, 0xbaee, v41
	v_fmac_f16_e32 v19, 0x3aee, v68
	v_fmamk_f16 v41, v27, 0x3aee, v28
	v_fmac_f16_e32 v28, 0xbaee, v27
	v_fma_f16 v27, -0.5, v40, v87
	v_fma_f16 v40, -0.5, v43, v51
	;; [unrolled: 1-line block ×3, first 2 shown]
	v_fmac_f16_e32 v70, 0xbaee, v77
	v_fmamk_f16 v61, v100, 0x3aee, v23
	v_fmac_f16_e32 v23, 0xbaee, v100
	v_sub_f16_e32 v44, v10, v5
	v_add_f16_e32 v48, v48, v49
	v_add_f16_e32 v49, v52, v53
	v_fmac_f16_e32 v69, 0x3aee, v35
	v_fmac_f16_e32 v58, -0.5, v57
	v_fmac_f16_e32 v24, 0.5, v35
	v_mul_f16_e32 v35, 0.5, v19
	v_mul_f16_e32 v19, 0xbaee, v19
	v_fmamk_f16 v53, v47, 0xbaee, v43
	v_fmac_f16_e32 v43, 0x3aee, v47
	v_add_f16_e32 v64, v87, v20
	v_add_f16_e32 v10, v11, v10
	v_fmac_f16_e32 v50, 0x3aee, v70
	v_fmac_f16_e32 v55, 0.5, v70
	v_fmamk_f16 v70, v39, 0xbaee, v22
	v_fmac_f16_e32 v22, 0x3aee, v39
	v_sub_f16_e32 v39, v12, v17
	v_add_f16_e32 v74, v12, v17
	v_fma_f16 v46, -0.5, v66, v8
	v_sub_f16_e32 v8, v62, v13
	v_add_f16_e32 v12, v62, v13
	v_fmac_f16_e32 v63, 0x3aee, v57
	v_fmamk_f16 v52, v44, 0x3aee, v40
	v_fmac_f16_e32 v40, 0xbaee, v44
	v_sub_f16_e32 v57, v61, v58
	v_sub_f16_e32 v62, v23, v24
	v_add_f16_e32 v58, v61, v58
	v_add_f16_e32 v61, v23, v24
	v_fmac_f16_e32 v35, 0x3aee, v38
	v_fmac_f16_e32 v19, 0.5, v38
	v_mul_f16_e32 v23, 0.5, v43
	v_mul_f16_e32 v38, 0xbaee, v43
	v_add_f16_e32 v102, v29, v30
	v_sub_f16_e32 v20, v20, v45
	v_add_f16_e32 v45, v64, v45
	v_add_f16_e32 v5, v10, v5
	v_sub_f16_e32 v64, v28, v19
	v_fmac_f16_e32 v23, 0x3aee, v40
	v_fmac_f16_e32 v38, 0.5, v40
	v_add_f16_e32 v40, v28, v19
	v_sub_f16_e32 v19, v97, v99
	v_sub_f16_e32 v104, v109, v110
	v_fma_f16 v78, -0.5, v102, v31
	v_sub_f16_e32 v68, v9, v18
	v_add_f16_e32 v75, v9, v18
	v_sub_f16_e32 v11, v21, v55
	v_add_f16_e32 v18, v21, v55
	v_mul_f16_e32 v21, -0.5, v72
	v_mul_f16_e32 v24, 0xbaee, v53
	v_fmamk_f16 v51, v42, 0xbaee, v27
	v_fmac_f16_e32 v27, 0x3aee, v42
	v_sub_f16_e32 v42, v45, v5
	v_add_f16_e32 v45, v45, v5
	v_fmamk_f16 v5, v19, 0xbaee, v73
	v_fmac_f16_e32 v73, 0x3aee, v19
	v_add_f16_e32 v19, v97, v99
	v_sub_f16_e32 v0, v4, v34
	v_add_f16_e32 v4, v4, v34
	v_fma_f16 v34, -0.5, v83, v85
	v_sub_f16_e32 v10, v67, v50
	v_add_f16_e32 v17, v67, v50
	v_mul_f16_e32 v50, 0xbaee, v72
	v_fmamk_f16 v44, v20, 0x3aee, v46
	v_fmac_f16_e32 v46, 0xbaee, v20
	v_mul_f16_e32 v20, -0.5, v53
	v_sub_f16_e32 v101, v29, v30
	v_fmamk_f16 v26, v104, 0xbaee, v78
	v_fmac_f16_e32 v21, 0x3aee, v71
	v_fmac_f16_e32 v24, -0.5, v52
	v_add_f16_e32 v29, v31, v29
	v_fma_f16 v19, -0.5, v19, v7
	v_sub_f16_e32 v31, v36, v37
	v_fmamk_f16 v56, v84, 0xbaee, v34
	v_fmac_f16_e32 v50, -0.5, v71
	v_fmac_f16_e32 v20, 0x3aee, v52
	v_fmac_f16_e32 v78, 0x3aee, v104
	v_sub_f16_e32 v9, v65, v54
	v_add_f16_e32 v13, v65, v54
	v_sub_f16_e32 v43, v70, v21
	v_sub_f16_e32 v53, v22, v35
	v_add_f16_e32 v65, v70, v21
	v_add_f16_e32 v35, v22, v35
	v_sub_f16_e32 v66, v44, v24
	v_fmamk_f16 v21, v101, 0x3aee, v76
	v_mul_f16_e32 v22, -0.5, v26
	v_add_f16_e32 v44, v44, v24
	v_add_f16_e32 v24, v88, v36
	v_mul_f16_e32 v26, 0xbaee, v26
	v_add_f16_e32 v29, v29, v30
	v_fmamk_f16 v30, v31, 0x3aee, v19
	v_fmac_f16_e32 v19, 0xbaee, v31
	v_mul_hi_u32 v31, 0xf2b9d649, v25
	v_sub_f16_e32 v54, v56, v63
	v_add_f16_e32 v56, v56, v63
	v_sub_f16_e32 v63, v41, v50
	v_add_f16_e32 v41, v41, v50
	;; [unrolled: 2-line block ×3, first 2 shown]
	v_fmac_f16_e32 v76, 0xbaee, v101
	v_mul_f16_e32 v20, 0.5, v78
	v_mul_f16_e32 v36, 0xbaee, v78
	v_fmac_f16_e32 v22, 0x3aee, v21
	v_add_f16_e32 v24, v24, v37
	v_add_f16_e32 v7, v7, v97
	v_fmac_f16_e32 v26, -0.5, v21
	v_add_f16_e32 v21, v108, v109
	v_fmac_f16_e32 v20, 0x3aee, v76
	v_fmac_f16_e32 v36, 0.5, v76
	v_fmac_f16_e32 v34, 0x3aee, v84
	v_sub_f16_e32 v47, v48, v49
	v_sub_f16_e32 v52, v27, v23
	;; [unrolled: 1-line block ×3, first 2 shown]
	v_add_f16_e32 v27, v27, v23
	v_add_f16_e32 v38, v46, v38
	;; [unrolled: 1-line block ×3, first 2 shown]
	v_sub_f16_e32 v23, v5, v22
	v_add_f16_e32 v7, v7, v99
	v_add_f16_e32 v21, v21, v110
	v_sub_f16_e32 v48, v24, v29
	v_add_f16_e32 v5, v5, v22
	v_lshrrev_b32_e32 v22, 9, v31
	v_add_f16_e32 v24, v24, v29
	v_add_nc_u32_e32 v29, 0x6c, v25
	v_sub_f16_e32 v37, v73, v20
	v_sub_f16_e32 v49, v30, v26
	;; [unrolled: 1-line block ×3, first 2 shown]
	v_add_f16_e32 v31, v73, v20
	v_add_f16_e32 v26, v30, v26
	;; [unrolled: 1-line block ×3, first 2 shown]
	v_lshlrev_b64 v[19:20], 2, v[59:60]
	v_sub_f16_e32 v55, v34, v69
	v_add_f16_e32 v34, v34, v69
	v_sub_f16_e32 v69, v7, v21
	v_mul_u32_u24_e32 v22, 0x21c, v22
	v_add_f16_e32 v7, v7, v21
	v_mul_hi_u32 v21, 0xf2b9d649, v29
	v_add_co_u32 v19, vcc_lo, s6, v19
	s_delay_alu instid0(VALU_DEP_4) | instskip(SKIP_1) | instid1(VALU_DEP_3)
	v_sub_nc_u32_e32 v22, v25, v22
	v_add_co_ci_u32_e32 v20, vcc_lo, s7, v20, vcc_lo
	v_add_co_u32 v36, vcc_lo, v19, v1
	v_lshrrev_b32_e32 v21, 9, v21
	s_delay_alu instid0(VALU_DEP_4) | instskip(NEXT) | instid1(VALU_DEP_4)
	v_lshlrev_b32_e32 v22, 2, v22
	v_add_co_ci_u32_e32 v59, vcc_lo, v20, v2, vcc_lo
	v_pack_b32_f16 v26, v26, v5
	s_delay_alu instid0(VALU_DEP_4) | instskip(NEXT) | instid1(VALU_DEP_4)
	v_mul_u32_u24_e32 v19, 0x21c, v21
	v_add_co_u32 v1, vcc_lo, v36, v22
	s_delay_alu instid0(VALU_DEP_4) | instskip(NEXT) | instid1(VALU_DEP_3)
	v_add_co_ci_u32_e32 v2, vcc_lo, 0, v59, vcc_lo
	v_sub_nc_u32_e32 v5, v29, v19
	s_delay_alu instid0(VALU_DEP_3)
	v_add_co_u32 v19, vcc_lo, 0x1000, v1
	v_pack_b32_f16 v7, v7, v24
	v_pack_b32_f16 v30, v30, v31
	v_add_co_ci_u32_e32 v20, vcc_lo, 0, v2, vcc_lo
	v_mad_u32_u24 v5, 0xca8, v21, v5
	v_add_co_u32 v21, vcc_lo, 0x2000, v1
	v_pack_b32_f16 v29, v69, v48
	v_pack_b32_f16 v31, v51, v37
	v_add_co_ci_u32_e32 v22, vcc_lo, 0, v2, vcc_lo
	v_pack_b32_f16 v37, v49, v23
	s_clause 0x5
	global_store_b32 v[1:2], v7, off
	global_store_b32 v[1:2], v30, off offset:2160
	global_store_b32 v[19:20], v26, off offset:224
	;; [unrolled: 1-line block ×5, first 2 shown]
	v_add_nc_u32_e32 v30, 0xd8, v25
	v_lshlrev_b64 v[23:24], 2, v[5:6]
	v_dual_mov_b32 v2, v6 :: v_dual_add_nc_u32 v1, 0x21c, v5
	v_add_nc_u32_e32 v21, 0x438, v5
	s_delay_alu instid0(VALU_DEP_4)
	v_mul_hi_u32 v29, 0xf2b9d649, v30
	v_mov_b32_e32 v22, v6
	v_add_co_u32 v19, vcc_lo, v36, v23
	v_lshlrev_b64 v[1:2], 2, v[1:2]
	v_pack_b32_f16 v37, v38, v27
	v_add_nc_u32_e32 v23, 0x654, v5
	v_add_nc_u32_e32 v26, 0x870, v5
	v_lshrrev_b32_e32 v31, 9, v29
	v_pack_b32_f16 v38, v44, v28
	v_add_nc_u32_e32 v5, 0xa8c, v5
	v_add_co_ci_u32_e32 v20, vcc_lo, v59, v24, vcc_lo
	s_delay_alu instid0(VALU_DEP_4)
	v_mul_u32_u24_e32 v44, 0x21c, v31
	v_mov_b32_e32 v24, v6
	v_lshlrev_b64 v[21:22], 2, v[21:22]
	v_mov_b32_e32 v27, v6
	v_lshlrev_b64 v[28:29], 2, v[5:6]
	v_sub_nc_u32_e32 v5, v30, v44
	v_add_co_u32 v1, vcc_lo, v36, v1
	v_lshlrev_b64 v[23:24], 2, v[23:24]
	v_add_co_ci_u32_e32 v2, vcc_lo, v59, v2, vcc_lo
	v_add_co_u32 v21, vcc_lo, v36, v21
	v_lshlrev_b64 v[26:27], 2, v[26:27]
	v_mad_u32_u24 v5, 0xca8, v31, v5
	v_add_co_ci_u32_e32 v22, vcc_lo, v59, v22, vcc_lo
	v_add_co_u32 v23, vcc_lo, v36, v23
	v_add_co_ci_u32_e32 v24, vcc_lo, v59, v24, vcc_lo
	v_add_co_u32 v26, vcc_lo, v36, v26
	v_lshlrev_b64 v[30:31], 2, v[5:6]
	v_pack_b32_f16 v7, v46, v45
	v_add_co_ci_u32_e32 v27, vcc_lo, v59, v27, vcc_lo
	v_add_co_u32 v28, vcc_lo, v36, v28
	v_pack_b32_f16 v42, v47, v42
	v_pack_b32_f16 v44, v67, v52
	v_add_co_ci_u32_e32 v29, vcc_lo, v59, v29, vcc_lo
	v_pack_b32_f16 v45, v66, v50
	s_clause 0x5
	global_store_b32 v[19:20], v7, off
	global_store_b32 v[1:2], v37, off
	;; [unrolled: 1-line block ×6, first 2 shown]
	v_dual_mov_b32 v2, v6 :: v_dual_add_nc_u32 v1, 0x21c, v5
	v_add_co_u32 v19, vcc_lo, v36, v30
	v_add_nc_u32_e32 v30, 0x144, v25
	v_dual_mov_b32 v22, v6 :: v_dual_add_nc_u32 v21, 0x438, v5
	s_delay_alu instid0(VALU_DEP_4) | instskip(SKIP_1) | instid1(VALU_DEP_4)
	v_lshlrev_b64 v[1:2], 2, v[1:2]
	v_add_nc_u32_e32 v23, 0x654, v5
	v_mul_hi_u32 v28, 0xf2b9d649, v30
	v_mov_b32_e32 v24, v6
	v_lshlrev_b64 v[21:22], 2, v[21:22]
	v_dual_mov_b32 v27, v6 :: v_dual_add_nc_u32 v26, 0x870, v5
	v_add_co_ci_u32_e32 v20, vcc_lo, v59, v31, vcc_lo
	v_add_co_u32 v1, vcc_lo, v36, v1
	v_lshlrev_b64 v[23:24], 2, v[23:24]
	v_add_nc_u32_e32 v5, 0xa8c, v5
	v_add_co_ci_u32_e32 v2, vcc_lo, v59, v2, vcc_lo
	v_lshrrev_b32_e32 v31, 9, v28
	v_add_co_u32 v21, vcc_lo, v36, v21
	v_lshlrev_b64 v[26:27], 2, v[26:27]
	v_add_co_ci_u32_e32 v22, vcc_lo, v59, v22, vcc_lo
	v_add_co_u32 v23, vcc_lo, v36, v23
	v_lshlrev_b64 v[28:29], 2, v[5:6]
	v_mul_u32_u24_e32 v38, 0x21c, v31
	v_add_co_ci_u32_e32 v24, vcc_lo, v59, v24, vcc_lo
	v_pack_b32_f16 v7, v75, v74
	v_add_co_u32 v26, vcc_lo, v36, v26
	v_pack_b32_f16 v35, v40, v35
	v_pack_b32_f16 v37, v41, v65
	v_add_co_ci_u32_e32 v27, vcc_lo, v59, v27, vcc_lo
	v_pack_b32_f16 v39, v68, v39
	v_sub_nc_u32_e32 v5, v30, v38
	v_add_co_u32 v28, vcc_lo, v36, v28
	v_pack_b32_f16 v38, v64, v53
	v_add_co_ci_u32_e32 v29, vcc_lo, v59, v29, vcc_lo
	v_pack_b32_f16 v40, v63, v43
	s_clause 0x5
	global_store_b32 v[19:20], v7, off
	global_store_b32 v[1:2], v35, off
	;; [unrolled: 1-line block ×6, first 2 shown]
	v_add_nc_u32_e32 v27, 0x1b0, v25
	v_mad_u32_u24 v5, 0xca8, v31, v5
	v_mov_b32_e32 v2, v6
	v_mov_b32_e32 v22, v6
	;; [unrolled: 1-line block ×3, first 2 shown]
	v_mul_hi_u32 v28, 0xf2b9d649, v27
	v_add_nc_u32_e32 v1, 0x21c, v5
	v_lshlrev_b64 v[30:31], 2, v[5:6]
	v_add_nc_u32_e32 v21, 0x438, v5
	v_add_nc_u32_e32 v23, 0x654, v5
	;; [unrolled: 1-line block ×3, first 2 shown]
	v_lshlrev_b64 v[1:2], 2, v[1:2]
	v_mov_b32_e32 v26, v6
	v_lshrrev_b32_e32 v28, 9, v28
	v_add_co_u32 v19, vcc_lo, v36, v30
	v_lshlrev_b64 v[21:22], 2, v[21:22]
	v_add_co_ci_u32_e32 v20, vcc_lo, v59, v31, vcc_lo
	v_add_nc_u32_e32 v5, 0xa8c, v5
	v_mul_u32_u24_e32 v31, 0x21c, v28
	v_add_co_u32 v1, vcc_lo, v36, v1
	v_lshlrev_b64 v[23:24], 2, v[23:24]
	v_add_co_ci_u32_e32 v2, vcc_lo, v59, v2, vcc_lo
	v_add_co_u32 v21, vcc_lo, v36, v21
	v_lshlrev_b64 v[25:26], 2, v[25:26]
	v_pack_b32_f16 v7, v33, v32
	v_pack_b32_f16 v32, v15, v14
	v_lshlrev_b64 v[14:15], 2, v[5:6]
	v_sub_nc_u32_e32 v5, v27, v31
	v_add_co_ci_u32_e32 v22, vcc_lo, v59, v22, vcc_lo
	v_add_co_u32 v23, vcc_lo, v36, v23
	v_add_co_ci_u32_e32 v24, vcc_lo, v59, v24, vcc_lo
	v_add_co_u32 v25, vcc_lo, v36, v25
	v_mad_u32_u24 v5, 0xca8, v28, v5
	v_pack_b32_f16 v29, v61, v34
	v_pack_b32_f16 v30, v58, v56
	v_add_co_ci_u32_e32 v26, vcc_lo, v59, v26, vcc_lo
	v_add_co_u32 v14, vcc_lo, v36, v14
	v_pack_b32_f16 v31, v62, v55
	v_add_co_ci_u32_e32 v15, vcc_lo, v59, v15, vcc_lo
	v_pack_b32_f16 v33, v57, v54
	s_clause 0x5
	global_store_b32 v[19:20], v7, off
	global_store_b32 v[1:2], v29, off
	;; [unrolled: 1-line block ×6, first 2 shown]
	v_dual_mov_b32 v22, v6 :: v_dual_add_nc_u32 v1, 0x21c, v5
	v_mov_b32_e32 v2, v6
	v_lshlrev_b64 v[27:28], 2, v[5:6]
	v_dual_mov_b32 v20, v6 :: v_dual_add_nc_u32 v19, 0x438, v5
	v_add_nc_u32_e32 v21, 0x654, v5
	s_delay_alu instid0(VALU_DEP_4)
	v_lshlrev_b64 v[1:2], 2, v[1:2]
	v_pack_b32_f16 v7, v16, v4
	v_add_co_u32 v14, vcc_lo, v36, v27
	v_lshlrev_b64 v[19:20], 2, v[19:20]
	v_add_co_ci_u32_e32 v15, vcc_lo, v59, v28, vcc_lo
	v_add_co_u32 v1, vcc_lo, v36, v1
	v_pack_b32_f16 v23, v18, v17
	v_lshlrev_b64 v[16:17], 2, v[21:22]
	v_add_nc_u32_e32 v21, 0x870, v5
	v_add_co_ci_u32_e32 v2, vcc_lo, v59, v2, vcc_lo
	v_add_co_u32 v18, vcc_lo, v36, v19
	v_add_nc_u32_e32 v5, 0xa8c, v5
	v_add_co_ci_u32_e32 v19, vcc_lo, v59, v20, vcc_lo
	v_pack_b32_f16 v20, v13, v12
	v_lshlrev_b64 v[12:13], 2, v[21:22]
	v_add_co_u32 v16, vcc_lo, v36, v16
	v_pack_b32_f16 v0, v3, v0
	v_lshlrev_b64 v[3:4], 2, v[5:6]
	v_add_co_ci_u32_e32 v17, vcc_lo, v59, v17, vcc_lo
	v_add_co_u32 v5, vcc_lo, v36, v12
	v_add_co_ci_u32_e32 v6, vcc_lo, v59, v13, vcc_lo
	s_delay_alu instid0(VALU_DEP_4)
	v_add_co_u32 v3, vcc_lo, v36, v3
	v_pack_b32_f16 v10, v11, v10
	v_add_co_ci_u32_e32 v4, vcc_lo, v59, v4, vcc_lo
	v_pack_b32_f16 v8, v9, v8
	s_clause 0x5
	global_store_b32 v[14:15], v7, off
	global_store_b32 v[1:2], v23, off
	;; [unrolled: 1-line block ×6, first 2 shown]
.LBB0_15:
	s_nop 0
	s_sendmsg sendmsg(MSG_DEALLOC_VGPRS)
	s_endpgm
	.section	.rodata,"a",@progbits
	.p2align	6, 0x0
	.amdhsa_kernel fft_rtc_back_len3240_factors_3_3_10_6_6_wgs_108_tpt_108_halfLds_half_op_CI_CI_unitstride_sbrr_dirReg
		.amdhsa_group_segment_fixed_size 0
		.amdhsa_private_segment_fixed_size 0
		.amdhsa_kernarg_size 104
		.amdhsa_user_sgpr_count 15
		.amdhsa_user_sgpr_dispatch_ptr 0
		.amdhsa_user_sgpr_queue_ptr 0
		.amdhsa_user_sgpr_kernarg_segment_ptr 1
		.amdhsa_user_sgpr_dispatch_id 0
		.amdhsa_user_sgpr_private_segment_size 0
		.amdhsa_wavefront_size32 1
		.amdhsa_uses_dynamic_stack 0
		.amdhsa_enable_private_segment 0
		.amdhsa_system_sgpr_workgroup_id_x 1
		.amdhsa_system_sgpr_workgroup_id_y 0
		.amdhsa_system_sgpr_workgroup_id_z 0
		.amdhsa_system_sgpr_workgroup_info 0
		.amdhsa_system_vgpr_workitem_id 0
		.amdhsa_next_free_vgpr 115
		.amdhsa_next_free_sgpr 27
		.amdhsa_reserve_vcc 1
		.amdhsa_float_round_mode_32 0
		.amdhsa_float_round_mode_16_64 0
		.amdhsa_float_denorm_mode_32 3
		.amdhsa_float_denorm_mode_16_64 3
		.amdhsa_dx10_clamp 1
		.amdhsa_ieee_mode 1
		.amdhsa_fp16_overflow 0
		.amdhsa_workgroup_processor_mode 1
		.amdhsa_memory_ordered 1
		.amdhsa_forward_progress 0
		.amdhsa_shared_vgpr_count 0
		.amdhsa_exception_fp_ieee_invalid_op 0
		.amdhsa_exception_fp_denorm_src 0
		.amdhsa_exception_fp_ieee_div_zero 0
		.amdhsa_exception_fp_ieee_overflow 0
		.amdhsa_exception_fp_ieee_underflow 0
		.amdhsa_exception_fp_ieee_inexact 0
		.amdhsa_exception_int_div_zero 0
	.end_amdhsa_kernel
	.text
.Lfunc_end0:
	.size	fft_rtc_back_len3240_factors_3_3_10_6_6_wgs_108_tpt_108_halfLds_half_op_CI_CI_unitstride_sbrr_dirReg, .Lfunc_end0-fft_rtc_back_len3240_factors_3_3_10_6_6_wgs_108_tpt_108_halfLds_half_op_CI_CI_unitstride_sbrr_dirReg
                                        ; -- End function
	.section	.AMDGPU.csdata,"",@progbits
; Kernel info:
; codeLenInByte = 18976
; NumSgprs: 29
; NumVgprs: 115
; ScratchSize: 0
; MemoryBound: 0
; FloatMode: 240
; IeeeMode: 1
; LDSByteSize: 0 bytes/workgroup (compile time only)
; SGPRBlocks: 3
; VGPRBlocks: 14
; NumSGPRsForWavesPerEU: 29
; NumVGPRsForWavesPerEU: 115
; Occupancy: 12
; WaveLimiterHint : 1
; COMPUTE_PGM_RSRC2:SCRATCH_EN: 0
; COMPUTE_PGM_RSRC2:USER_SGPR: 15
; COMPUTE_PGM_RSRC2:TRAP_HANDLER: 0
; COMPUTE_PGM_RSRC2:TGID_X_EN: 1
; COMPUTE_PGM_RSRC2:TGID_Y_EN: 0
; COMPUTE_PGM_RSRC2:TGID_Z_EN: 0
; COMPUTE_PGM_RSRC2:TIDIG_COMP_CNT: 0
	.text
	.p2alignl 7, 3214868480
	.fill 96, 4, 3214868480
	.type	__hip_cuid_58015141c5923532,@object ; @__hip_cuid_58015141c5923532
	.section	.bss,"aw",@nobits
	.globl	__hip_cuid_58015141c5923532
__hip_cuid_58015141c5923532:
	.byte	0                               ; 0x0
	.size	__hip_cuid_58015141c5923532, 1

	.ident	"AMD clang version 19.0.0git (https://github.com/RadeonOpenCompute/llvm-project roc-6.4.0 25133 c7fe45cf4b819c5991fe208aaa96edf142730f1d)"
	.section	".note.GNU-stack","",@progbits
	.addrsig
	.addrsig_sym __hip_cuid_58015141c5923532
	.amdgpu_metadata
---
amdhsa.kernels:
  - .args:
      - .actual_access:  read_only
        .address_space:  global
        .offset:         0
        .size:           8
        .value_kind:     global_buffer
      - .offset:         8
        .size:           8
        .value_kind:     by_value
      - .actual_access:  read_only
        .address_space:  global
        .offset:         16
        .size:           8
        .value_kind:     global_buffer
      - .actual_access:  read_only
        .address_space:  global
        .offset:         24
        .size:           8
        .value_kind:     global_buffer
      - .actual_access:  read_only
        .address_space:  global
        .offset:         32
        .size:           8
        .value_kind:     global_buffer
      - .offset:         40
        .size:           8
        .value_kind:     by_value
      - .actual_access:  read_only
        .address_space:  global
        .offset:         48
        .size:           8
        .value_kind:     global_buffer
      - .actual_access:  read_only
        .address_space:  global
        .offset:         56
        .size:           8
        .value_kind:     global_buffer
      - .offset:         64
        .size:           4
        .value_kind:     by_value
      - .actual_access:  read_only
        .address_space:  global
        .offset:         72
        .size:           8
        .value_kind:     global_buffer
      - .actual_access:  read_only
        .address_space:  global
        .offset:         80
        .size:           8
        .value_kind:     global_buffer
      - .actual_access:  read_only
        .address_space:  global
        .offset:         88
        .size:           8
        .value_kind:     global_buffer
      - .actual_access:  write_only
        .address_space:  global
        .offset:         96
        .size:           8
        .value_kind:     global_buffer
    .group_segment_fixed_size: 0
    .kernarg_segment_align: 8
    .kernarg_segment_size: 104
    .language:       OpenCL C
    .language_version:
      - 2
      - 0
    .max_flat_workgroup_size: 108
    .name:           fft_rtc_back_len3240_factors_3_3_10_6_6_wgs_108_tpt_108_halfLds_half_op_CI_CI_unitstride_sbrr_dirReg
    .private_segment_fixed_size: 0
    .sgpr_count:     29
    .sgpr_spill_count: 0
    .symbol:         fft_rtc_back_len3240_factors_3_3_10_6_6_wgs_108_tpt_108_halfLds_half_op_CI_CI_unitstride_sbrr_dirReg.kd
    .uniform_work_group_size: 1
    .uses_dynamic_stack: false
    .vgpr_count:     115
    .vgpr_spill_count: 0
    .wavefront_size: 32
    .workgroup_processor_mode: 1
amdhsa.target:   amdgcn-amd-amdhsa--gfx1100
amdhsa.version:
  - 1
  - 2
...

	.end_amdgpu_metadata
